;; amdgpu-corpus repo=ROCm/rocFFT kind=compiled arch=gfx906 opt=O3
	.text
	.amdgcn_target "amdgcn-amd-amdhsa--gfx906"
	.amdhsa_code_object_version 6
	.protected	bluestein_single_back_len2197_dim1_dp_op_CI_CI ; -- Begin function bluestein_single_back_len2197_dim1_dp_op_CI_CI
	.globl	bluestein_single_back_len2197_dim1_dp_op_CI_CI
	.p2align	8
	.type	bluestein_single_back_len2197_dim1_dp_op_CI_CI,@function
bluestein_single_back_len2197_dim1_dp_op_CI_CI: ; @bluestein_single_back_len2197_dim1_dp_op_CI_CI
; %bb.0:
	s_load_dwordx4 s[16:19], s[4:5], 0x28
	v_mul_u32_u24_e32 v1, 0x184, v0
	v_add_u32_sdwa v172, s6, v1 dst_sel:DWORD dst_unused:UNUSED_PAD src0_sel:DWORD src1_sel:WORD_1
	v_mov_b32_e32 v173, 0
	s_waitcnt lgkmcnt(0)
	v_cmp_gt_u64_e32 vcc, s[16:17], v[172:173]
	s_and_saveexec_b64 s[0:1], vcc
	s_cbranch_execz .LBB0_2
; %bb.1:
	s_load_dwordx4 s[0:3], s[4:5], 0x18
	s_load_dwordx4 s[8:11], s[4:5], 0x0
	s_movk_i32 s6, 0x1000
	s_mov_b32 s22, 0x4267c47c
	s_mov_b32 s23, 0xbfddbe06
	s_waitcnt lgkmcnt(0)
	s_load_dwordx4 s[12:15], s[0:1], 0x0
	s_movk_i32 s0, 0xa9
	v_mul_lo_u16_sdwa v1, v1, s0 dst_sel:DWORD dst_unused:UNUSED_PAD src0_sel:WORD_1 src1_sel:DWORD
	v_sub_u16_e32 v174, v0, v1
	v_lshlrev_b32_e32 v173, 4, v174
	s_waitcnt lgkmcnt(0)
	v_mad_u64_u32 v[0:1], s[0:1], s14, v172, 0
	v_mad_u64_u32 v[2:3], s[0:1], s12, v174, 0
	s_mov_b32 s16, 0x2ef20147
	s_mov_b32 s24, 0x24c2f84
	v_mad_u64_u32 v[4:5], s[0:1], s15, v172, v[1:2]
	s_mov_b32 s30, 0x4bc48dbf
	s_mov_b32 s17, 0xbfedeba7
	v_mad_u64_u32 v[5:6], s[0:1], s13, v174, v[3:4]
	v_mov_b32_e32 v1, v4
	v_lshlrev_b64 v[0:1], 4, v[0:1]
	v_mov_b32_e32 v6, s19
	v_mov_b32_e32 v3, v5
	v_add_co_u32_e32 v4, vcc, s18, v0
	v_addc_co_u32_e32 v5, vcc, v6, v1, vcc
	v_lshlrev_b64 v[0:1], 4, v[2:3]
	v_mov_b32_e32 v2, s9
	v_add_co_u32_e32 v0, vcc, v4, v0
	v_addc_co_u32_e32 v1, vcc, v5, v1, vcc
	v_add_co_u32_e32 v168, vcc, s8, v173
	s_mul_i32 s0, s13, 0xa90
	s_mul_hi_u32 s1, s12, 0xa90
	v_addc_co_u32_e32 v169, vcc, 0, v2, vcc
	s_add_i32 s0, s1, s0
	s_mul_i32 s1, s12, 0xa90
	global_load_dwordx4 v[52:55], v[0:1], off
	v_mov_b32_e32 v2, s0
	v_add_co_u32_e32 v0, vcc, s1, v0
	v_addc_co_u32_e32 v1, vcc, v1, v2, vcc
	v_mov_b32_e32 v3, s0
	v_add_co_u32_e32 v2, vcc, s1, v0
	v_addc_co_u32_e32 v3, vcc, v1, v3, vcc
	v_add_co_u32_e32 v4, vcc, s6, v168
	global_load_dwordx4 v[40:43], v173, s[8:9]
	global_load_dwordx4 v[24:27], v173, s[8:9] offset:2704
	v_addc_co_u32_e32 v5, vcc, 0, v169, vcc
	global_load_dwordx4 v[56:59], v[0:1], off
	global_load_dwordx4 v[60:63], v[2:3], off
	v_mov_b32_e32 v0, s0
	v_add_co_u32_e32 v6, vcc, s1, v2
	v_addc_co_u32_e32 v7, vcc, v3, v0, vcc
	global_load_dwordx4 v[28:31], v[4:5], off offset:1312
	global_load_dwordx4 v[0:3], v[4:5], off offset:4016
	v_mov_b32_e32 v4, s0
	v_add_co_u32_e32 v8, vcc, s1, v6
	v_addc_co_u32_e32 v9, vcc, v7, v4, vcc
	s_movk_i32 s6, 0x2000
	v_add_co_u32_e32 v4, vcc, s6, v168
	v_addc_co_u32_e32 v5, vcc, 0, v169, vcc
	global_load_dwordx4 v[64:67], v[6:7], off
	global_load_dwordx4 v[68:71], v[8:9], off
	v_mov_b32_e32 v10, s0
	v_add_co_u32_e32 v8, vcc, s1, v8
	v_addc_co_u32_e32 v9, vcc, v9, v10, vcc
	s_movk_i32 s6, 0x3000
	v_add_co_u32_e32 v12, vcc, s6, v168
	global_load_dwordx4 v[4:7], v[4:5], off offset:2624
	v_addc_co_u32_e32 v13, vcc, 0, v169, vcc
	v_add_co_u32_e32 v14, vcc, s1, v8
	v_addc_co_u32_e32 v15, vcc, v9, v10, vcc
	global_load_dwordx4 v[72:75], v[8:9], off
	global_load_dwordx4 v[76:79], v[14:15], off
	global_load_dwordx4 v[44:47], v[12:13], off offset:1232
	s_nop 0
	global_load_dwordx4 v[8:11], v[12:13], off offset:3936
	v_mov_b32_e32 v12, s0
	v_add_co_u32_e32 v16, vcc, s1, v14
	v_addc_co_u32_e32 v17, vcc, v15, v12, vcc
	s_movk_i32 s6, 0x4000
	v_add_co_u32_e32 v12, vcc, s6, v168
	v_addc_co_u32_e32 v13, vcc, 0, v169, vcc
	global_load_dwordx4 v[80:83], v[16:17], off
	v_mov_b32_e32 v18, s0
	v_add_co_u32_e32 v16, vcc, s1, v16
	v_addc_co_u32_e32 v17, vcc, v17, v18, vcc
	s_movk_i32 s6, 0x5000
	v_add_co_u32_e32 v20, vcc, s6, v168
	v_addc_co_u32_e32 v21, vcc, 0, v169, vcc
	v_add_co_u32_e32 v22, vcc, s1, v16
	v_addc_co_u32_e32 v23, vcc, v17, v18, vcc
	global_load_dwordx4 v[12:15], v[12:13], off offset:2544
	v_add_co_u32_e32 v32, vcc, s1, v22
	global_load_dwordx4 v[84:87], v[16:17], off
	global_load_dwordx4 v[88:91], v[22:23], off
	global_load_dwordx4 v[48:51], v[20:21], off offset:1152
	s_nop 0
	global_load_dwordx4 v[16:19], v[20:21], off offset:3856
	v_mov_b32_e32 v20, s0
	v_addc_co_u32_e32 v33, vcc, v23, v20, vcc
	s_movk_i32 s6, 0x6000
	v_add_co_u32_e32 v20, vcc, s6, v168
	v_addc_co_u32_e32 v21, vcc, 0, v169, vcc
	global_load_dwordx4 v[92:95], v[32:33], off
	v_mov_b32_e32 v34, s0
	v_add_co_u32_e32 v32, vcc, s1, v32
	v_addc_co_u32_e32 v33, vcc, v33, v34, vcc
	s_movk_i32 s6, 0x7000
	v_add_co_u32_e32 v104, vcc, s6, v168
	global_load_dwordx4 v[20:23], v[20:21], off offset:2464
	v_addc_co_u32_e32 v105, vcc, 0, v169, vcc
	global_load_dwordx4 v[96:99], v[32:33], off
	v_add_co_u32_e32 v106, vcc, s1, v32
	v_addc_co_u32_e32 v107, vcc, v33, v34, vcc
	global_load_dwordx4 v[32:35], v[104:105], off offset:1072
	global_load_dwordx4 v[100:103], v[106:107], off
	global_load_dwordx4 v[36:39], v[104:105], off offset:3776
	s_waitcnt vmcnt(24)
	v_mul_f64 v[104:105], v[54:55], v[42:43]
	v_mul_f64 v[106:107], v[52:53], v[42:43]
	s_waitcnt vmcnt(20)
	v_mul_f64 v[108:109], v[62:63], v[30:31]
	v_mul_f64 v[110:111], v[60:61], v[30:31]
	s_load_dwordx4 s[0:3], s[2:3], 0x0
	s_waitcnt vmcnt(18)
	v_mul_f64 v[112:113], v[66:67], v[2:3]
	v_mul_f64 v[114:115], v[64:65], v[2:3]
	s_mov_b32 s18, 0xe00740e9
	v_fma_f64 v[52:53], v[52:53], v[40:41], v[104:105]
	v_fma_f64 v[54:55], v[54:55], v[40:41], -v[106:107]
	v_mul_f64 v[104:105], v[58:59], v[26:27]
	v_mul_f64 v[106:107], v[56:57], v[26:27]
	v_fma_f64 v[60:61], v[60:61], v[28:29], v[108:109]
	v_fma_f64 v[62:63], v[62:63], v[28:29], -v[110:111]
	v_fma_f64 v[64:65], v[64:65], v[0:1], v[112:113]
	s_waitcnt vmcnt(16)
	v_mul_f64 v[116:117], v[70:71], v[6:7]
	v_mul_f64 v[118:119], v[68:69], v[6:7]
	v_fma_f64 v[66:67], v[66:67], v[0:1], -v[114:115]
	v_fma_f64 v[56:57], v[56:57], v[24:25], v[104:105]
	v_fma_f64 v[58:59], v[58:59], v[24:25], -v[106:107]
	s_mov_b32 s19, 0x3fec55a7
	s_mov_b32 s12, 0x42a4c3d2
	;; [unrolled: 1-line block ×3, first 2 shown]
	v_fma_f64 v[68:69], v[68:69], v[4:5], v[116:117]
	v_fma_f64 v[70:71], v[70:71], v[4:5], -v[118:119]
	ds_write_b128 v173, v[52:55]
	ds_write_b128 v173, v[56:59] offset:2704
	ds_write_b128 v173, v[60:63] offset:5408
	;; [unrolled: 1-line block ×4, first 2 shown]
	s_waitcnt vmcnt(13)
	v_mul_f64 v[52:53], v[74:75], v[46:47]
	v_mul_f64 v[54:55], v[72:73], v[46:47]
	s_waitcnt vmcnt(12)
	v_mul_f64 v[56:57], v[78:79], v[10:11]
	v_mul_f64 v[58:59], v[76:77], v[10:11]
	s_mov_b32 s13, 0xbfea55e2
	s_mov_b32 s7, 0xbfefc445
	;; [unrolled: 1-line block ×4, first 2 shown]
	v_fma_f64 v[52:53], v[72:73], v[44:45], v[52:53]
	v_fma_f64 v[54:55], v[74:75], v[44:45], -v[54:55]
	v_fma_f64 v[56:57], v[76:77], v[8:9], v[56:57]
	v_fma_f64 v[58:59], v[78:79], v[8:9], -v[58:59]
	s_mov_b32 s14, 0x1ea71119
	s_mov_b32 s8, 0xebaa3ed8
	;; [unrolled: 1-line block ×8, first 2 shown]
	s_waitcnt vmcnt(10)
	v_mul_f64 v[60:61], v[82:83], v[14:15]
	v_mul_f64 v[62:63], v[80:81], v[14:15]
	s_mov_b32 s27, 0xbfe7f3cc
	s_waitcnt vmcnt(7)
	v_mul_f64 v[64:65], v[86:87], v[50:51]
	v_mul_f64 v[66:67], v[84:85], v[50:51]
	s_waitcnt vmcnt(6)
	v_mul_f64 v[68:69], v[90:91], v[18:19]
	v_mul_f64 v[70:71], v[88:89], v[18:19]
	s_mov_b32 s35, 0xbfef11f4
	v_fma_f64 v[60:61], v[80:81], v[12:13], v[60:61]
	v_fma_f64 v[62:63], v[82:83], v[12:13], -v[62:63]
	s_mov_b32 s37, 0x3fe5384d
	v_fma_f64 v[64:65], v[84:85], v[48:49], v[64:65]
	v_fma_f64 v[66:67], v[86:87], v[48:49], -v[66:67]
	v_fma_f64 v[68:69], v[88:89], v[16:17], v[68:69]
	v_fma_f64 v[70:71], v[90:91], v[16:17], -v[70:71]
	s_mov_b32 s36, s24
	s_mov_b32 s29, 0x3fefc445
	;; [unrolled: 1-line block ×7, first 2 shown]
	s_waitcnt vmcnt(4)
	v_mul_f64 v[72:73], v[94:95], v[22:23]
	v_mul_f64 v[74:75], v[92:93], v[22:23]
	s_mov_b32 s45, 0x3fcea1e5
	s_mov_b32 s44, s30
	;; [unrolled: 1-line block ×4, first 2 shown]
	s_waitcnt vmcnt(2)
	v_mul_f64 v[76:77], v[98:99], v[34:35]
	v_mul_f64 v[78:79], v[96:97], v[34:35]
	s_waitcnt vmcnt(0)
	v_mul_f64 v[80:81], v[102:103], v[38:39]
	v_mul_f64 v[82:83], v[100:101], v[38:39]
	v_fma_f64 v[72:73], v[92:93], v[20:21], v[72:73]
	v_fma_f64 v[74:75], v[94:95], v[20:21], -v[74:75]
	s_movk_i32 s33, 0x4f
	s_load_dwordx2 s[4:5], s[4:5], 0x38
	v_fma_f64 v[76:77], v[96:97], v[32:33], v[76:77]
	v_fma_f64 v[78:79], v[98:99], v[32:33], -v[78:79]
	v_fma_f64 v[80:81], v[100:101], v[36:37], v[80:81]
	v_fma_f64 v[82:83], v[102:103], v[36:37], -v[82:83]
	ds_write_b128 v173, v[52:55] offset:13520
	ds_write_b128 v173, v[56:59] offset:16224
	;; [unrolled: 1-line block ×8, first 2 shown]
	s_waitcnt lgkmcnt(0)
	s_barrier
	ds_read_b128 v[72:75], v173
	ds_read_b128 v[52:55], v173 offset:2704
	ds_read_b128 v[76:79], v173 offset:5408
	;; [unrolled: 1-line block ×5, first 2 shown]
	s_waitcnt lgkmcnt(4)
	v_add_f64 v[56:57], v[72:73], v[52:53]
	v_add_f64 v[58:59], v[74:75], v[54:55]
	s_waitcnt lgkmcnt(3)
	v_add_f64 v[56:57], v[56:57], v[76:77]
	v_add_f64 v[58:59], v[58:59], v[78:79]
	;; [unrolled: 3-line block ×5, first 2 shown]
	ds_read_b128 v[56:59], v173 offset:16224
	s_waitcnt lgkmcnt(0)
	v_add_f64 v[68:69], v[60:61], v[56:57]
	v_add_f64 v[70:71], v[62:63], v[58:59]
	ds_read_b128 v[60:63], v173 offset:18928
	s_waitcnt lgkmcnt(0)
	v_add_f64 v[88:89], v[68:69], v[60:61]
	v_add_f64 v[90:91], v[70:71], v[62:63]
	;; [unrolled: 4-line block ×3, first 2 shown]
	ds_read_b128 v[88:91], v173 offset:24336
	ds_read_b128 v[92:95], v173 offset:32448
	s_waitcnt lgkmcnt(0)
	v_add_f64 v[108:109], v[54:55], -v[94:95]
	v_add_f64 v[104:105], v[96:97], v[88:89]
	v_add_f64 v[106:107], v[98:99], v[90:91]
	v_add_f64 v[110:111], v[52:53], -v[92:93]
	ds_read_b128 v[96:99], v173 offset:27040
	ds_read_b128 v[100:103], v173 offset:29744
	v_add_f64 v[112:113], v[52:53], v[92:93]
	v_add_f64 v[114:115], v[54:55], v[94:95]
	s_waitcnt lgkmcnt(0)
	v_mul_f64 v[116:117], v[108:109], s[22:23]
	v_add_f64 v[104:105], v[104:105], v[96:97]
	v_add_f64 v[106:107], v[106:107], v[98:99]
	v_mul_f64 v[118:119], v[110:111], s[22:23]
	v_mul_f64 v[120:121], v[108:109], s[6:7]
	;; [unrolled: 1-line block ×6, first 2 shown]
	v_add_f64 v[52:53], v[104:105], v[100:101]
	v_add_f64 v[54:55], v[106:107], v[102:103]
	v_fma_f64 v[104:105], v[112:113], s[18:19], -v[116:117]
	v_fma_f64 v[106:107], v[114:115], s[18:19], v[118:119]
	v_mul_f64 v[138:139], v[110:111], s[24:25]
	v_add_f64 v[148:149], v[78:79], -v[102:103]
	v_add_f64 v[150:151], v[76:77], -v[100:101]
	v_fma_f64 v[128:129], v[112:113], s[8:9], -v[120:121]
	v_add_f64 v[52:53], v[52:53], v[92:93]
	v_add_f64 v[54:55], v[54:55], v[94:95]
	;; [unrolled: 1-line block ×4, first 2 shown]
	v_fma_f64 v[104:105], v[112:113], s[18:19], v[116:117]
	v_fma_f64 v[106:107], v[114:115], s[18:19], -v[118:119]
	v_mul_f64 v[116:117], v[108:109], s[12:13]
	v_mul_f64 v[118:119], v[110:111], s[12:13]
	;; [unrolled: 1-line block ×4, first 2 shown]
	v_fma_f64 v[130:131], v[114:115], s[8:9], v[122:123]
	v_fma_f64 v[120:121], v[112:113], s[8:9], v[120:121]
	v_fma_f64 v[122:123], v[114:115], s[8:9], -v[122:123]
	v_fma_f64 v[140:141], v[112:113], s[20:21], -v[132:133]
	;; [unrolled: 1-line block ×3, first 2 shown]
	v_fma_f64 v[126:127], v[114:115], s[14:15], v[118:119]
	v_fma_f64 v[116:117], v[112:113], s[14:15], v[116:117]
	v_fma_f64 v[118:119], v[114:115], s[14:15], -v[118:119]
	v_fma_f64 v[142:143], v[114:115], s[20:21], v[134:135]
	v_fma_f64 v[132:133], v[112:113], s[20:21], v[132:133]
	v_fma_f64 v[134:135], v[114:115], s[20:21], -v[134:135]
	v_fma_f64 v[144:145], v[112:113], s[26:27], -v[136:137]
	v_fma_f64 v[146:147], v[114:115], s[26:27], v[138:139]
	v_fma_f64 v[136:137], v[112:113], s[26:27], v[136:137]
	v_fma_f64 v[138:139], v[114:115], s[26:27], -v[138:139]
	v_add_f64 v[76:77], v[76:77], v[100:101]
	v_add_f64 v[78:79], v[78:79], v[102:103]
	v_mul_f64 v[100:101], v[148:149], s[12:13]
	v_mul_f64 v[102:103], v[150:151], s[12:13]
	v_fma_f64 v[152:153], v[112:113], s[34:35], -v[108:109]
	v_fma_f64 v[154:155], v[114:115], s[34:35], v[110:111]
	v_fma_f64 v[108:109], v[112:113], s[34:35], v[108:109]
	v_fma_f64 v[110:111], v[114:115], s[34:35], -v[110:111]
	v_add_f64 v[104:105], v[72:73], v[104:105]
	v_add_f64 v[106:107], v[74:75], v[106:107]
	;; [unrolled: 1-line block ×18, first 2 shown]
	v_fma_f64 v[136:137], v[76:77], s[14:15], -v[100:101]
	v_fma_f64 v[138:139], v[78:79], s[14:15], v[102:103]
	v_add_f64 v[152:153], v[72:73], v[152:153]
	v_add_f64 v[154:155], v[74:75], v[154:155]
	;; [unrolled: 1-line block ×4, first 2 shown]
	v_mul_f64 v[108:109], v[148:149], s[16:17]
	v_mul_f64 v[110:111], v[150:151], s[16:17]
	v_add_f64 v[92:93], v[136:137], v[92:93]
	v_add_f64 v[94:95], v[138:139], v[94:95]
	v_mul_f64 v[136:137], v[148:149], s[30:31]
	v_mul_f64 v[138:139], v[150:151], s[30:31]
	v_fma_f64 v[100:101], v[76:77], s[14:15], v[100:101]
	v_fma_f64 v[102:103], v[78:79], s[14:15], -v[102:103]
	v_fma_f64 v[156:157], v[76:77], s[20:21], -v[108:109]
	v_fma_f64 v[158:159], v[78:79], s[20:21], v[110:111]
	v_fma_f64 v[108:109], v[76:77], s[20:21], v[108:109]
	v_fma_f64 v[110:111], v[78:79], s[20:21], -v[110:111]
	v_fma_f64 v[160:161], v[76:77], s[34:35], -v[136:137]
	v_fma_f64 v[162:163], v[78:79], s[34:35], v[138:139]
	v_add_f64 v[100:101], v[100:101], v[104:105]
	v_add_f64 v[102:103], v[102:103], v[106:107]
	;; [unrolled: 1-line block ×4, first 2 shown]
	v_mul_f64 v[124:125], v[148:149], s[36:37]
	v_mul_f64 v[126:127], v[150:151], s[36:37]
	v_add_f64 v[108:109], v[108:109], v[116:117]
	v_add_f64 v[110:111], v[110:111], v[118:119]
	;; [unrolled: 1-line block ×4, first 2 shown]
	v_mul_f64 v[128:129], v[148:149], s[28:29]
	v_mul_f64 v[130:131], v[150:151], s[28:29]
	v_fma_f64 v[136:137], v[76:77], s[34:35], v[136:137]
	v_fma_f64 v[138:139], v[78:79], s[34:35], -v[138:139]
	v_fma_f64 v[156:157], v[76:77], s[26:27], -v[124:125]
	v_fma_f64 v[158:159], v[78:79], s[26:27], v[126:127]
	v_fma_f64 v[124:125], v[76:77], s[26:27], v[124:125]
	v_fma_f64 v[126:127], v[78:79], s[26:27], -v[126:127]
	v_fma_f64 v[160:161], v[76:77], s[8:9], -v[128:129]
	v_fma_f64 v[162:163], v[78:79], s[8:9], v[130:131]
	v_add_f64 v[120:121], v[136:137], v[120:121]
	v_add_f64 v[122:123], v[138:139], v[122:123]
	;; [unrolled: 1-line block ×4, first 2 shown]
	v_add_f64 v[140:141], v[82:83], -v[98:99]
	v_add_f64 v[142:143], v[80:81], -v[96:97]
	v_add_f64 v[124:125], v[124:125], v[132:133]
	v_add_f64 v[126:127], v[126:127], v[134:135]
	;; [unrolled: 1-line block ×4, first 2 shown]
	v_mul_f64 v[144:145], v[148:149], s[40:41]
	v_mul_f64 v[146:147], v[150:151], s[40:41]
	v_add_f64 v[80:81], v[80:81], v[96:97]
	v_add_f64 v[82:83], v[82:83], v[98:99]
	v_mul_f64 v[96:97], v[140:141], s[6:7]
	v_mul_f64 v[98:99], v[142:143], s[6:7]
	v_fma_f64 v[128:129], v[76:77], s[8:9], v[128:129]
	v_fma_f64 v[130:131], v[78:79], s[8:9], -v[130:131]
	v_fma_f64 v[148:149], v[76:77], s[18:19], -v[144:145]
	v_fma_f64 v[150:151], v[78:79], s[18:19], v[146:147]
	v_fma_f64 v[76:77], v[76:77], s[18:19], v[144:145]
	v_fma_f64 v[78:79], v[78:79], s[18:19], -v[146:147]
	v_fma_f64 v[144:145], v[80:81], s[8:9], -v[96:97]
	v_fma_f64 v[146:147], v[82:83], s[8:9], v[98:99]
	v_fma_f64 v[96:97], v[80:81], s[8:9], v[96:97]
	v_fma_f64 v[98:99], v[82:83], s[8:9], -v[98:99]
	v_add_f64 v[112:113], v[128:129], v[112:113]
	v_add_f64 v[114:115], v[130:131], v[114:115]
	;; [unrolled: 1-line block ×6, first 2 shown]
	v_mul_f64 v[92:93], v[140:141], s[30:31]
	v_mul_f64 v[94:95], v[142:143], s[30:31]
	;; [unrolled: 1-line block ×4, first 2 shown]
	v_add_f64 v[128:129], v[148:149], v[152:153]
	v_add_f64 v[130:131], v[150:151], v[154:155]
	;; [unrolled: 1-line block ×4, first 2 shown]
	v_fma_f64 v[148:149], v[80:81], s[34:35], -v[92:93]
	v_fma_f64 v[150:151], v[82:83], s[34:35], v[94:95]
	v_fma_f64 v[92:93], v[80:81], s[34:35], v[92:93]
	v_fma_f64 v[94:95], v[82:83], s[34:35], -v[94:95]
	v_fma_f64 v[100:101], v[80:81], s[20:21], -v[144:145]
	v_fma_f64 v[102:103], v[82:83], s[20:21], v[146:147]
	s_barrier
	v_add_f64 v[104:105], v[148:149], v[104:105]
	v_add_f64 v[106:107], v[150:151], v[106:107]
	;; [unrolled: 1-line block ×4, first 2 shown]
	v_mul_f64 v[108:109], v[140:141], s[40:41]
	v_mul_f64 v[110:111], v[142:143], s[40:41]
	v_add_f64 v[100:101], v[100:101], v[116:117]
	v_add_f64 v[102:103], v[102:103], v[118:119]
	v_fma_f64 v[116:117], v[80:81], s[20:21], v[144:145]
	v_fma_f64 v[118:119], v[82:83], s[20:21], -v[146:147]
	v_mul_f64 v[144:145], v[140:141], s[12:13]
	v_mul_f64 v[146:147], v[142:143], s[12:13]
	v_fma_f64 v[148:149], v[80:81], s[18:19], -v[108:109]
	v_fma_f64 v[150:151], v[82:83], s[18:19], v[110:111]
	v_fma_f64 v[108:109], v[80:81], s[18:19], v[108:109]
	v_fma_f64 v[110:111], v[82:83], s[18:19], -v[110:111]
	v_add_f64 v[116:117], v[116:117], v[120:121]
	v_add_f64 v[118:119], v[118:119], v[122:123]
	v_fma_f64 v[120:121], v[80:81], s[14:15], -v[144:145]
	v_fma_f64 v[122:123], v[82:83], s[14:15], v[146:147]
	v_add_f64 v[136:137], v[148:149], v[136:137]
	v_add_f64 v[138:139], v[150:151], v[138:139]
	;; [unrolled: 1-line block ×4, first 2 shown]
	v_mul_f64 v[124:125], v[140:141], s[24:25]
	v_mul_f64 v[126:127], v[142:143], s[24:25]
	v_add_f64 v[120:121], v[120:121], v[132:133]
	v_add_f64 v[122:123], v[122:123], v[134:135]
	v_add_f64 v[132:133], v[86:87], -v[90:91]
	v_add_f64 v[134:135], v[84:85], -v[88:89]
	v_fma_f64 v[140:141], v[80:81], s[14:15], v[144:145]
	v_fma_f64 v[142:143], v[82:83], s[14:15], -v[146:147]
	v_fma_f64 v[144:145], v[80:81], s[26:27], -v[124:125]
	v_fma_f64 v[146:147], v[82:83], s[26:27], v[126:127]
	v_add_f64 v[84:85], v[84:85], v[88:89]
	v_add_f64 v[86:87], v[86:87], v[90:91]
	v_mul_f64 v[88:89], v[132:133], s[16:17]
	v_mul_f64 v[90:91], v[134:135], s[16:17]
	v_fma_f64 v[80:81], v[80:81], s[26:27], v[124:125]
	v_fma_f64 v[82:83], v[82:83], s[26:27], -v[126:127]
	v_add_f64 v[124:125], v[144:145], v[128:129]
	v_add_f64 v[126:127], v[146:147], v[130:131]
	;; [unrolled: 1-line block ×4, first 2 shown]
	v_fma_f64 v[128:129], v[84:85], s[20:21], -v[88:89]
	v_fma_f64 v[130:131], v[86:87], s[20:21], v[90:91]
	v_add_f64 v[72:73], v[80:81], v[72:73]
	v_add_f64 v[74:75], v[82:83], v[74:75]
	v_mul_f64 v[80:81], v[132:133], s[36:37]
	v_mul_f64 v[82:83], v[134:135], s[36:37]
	v_fma_f64 v[88:89], v[84:85], s[20:21], v[88:89]
	v_fma_f64 v[90:91], v[86:87], s[20:21], -v[90:91]
	v_add_f64 v[76:77], v[128:129], v[76:77]
	v_add_f64 v[78:79], v[130:131], v[78:79]
	v_mul_f64 v[128:129], v[132:133], s[40:41]
	v_mul_f64 v[130:131], v[134:135], s[40:41]
	v_fma_f64 v[140:141], v[84:85], s[26:27], -v[80:81]
	v_fma_f64 v[142:143], v[86:87], s[26:27], v[82:83]
	v_add_f64 v[88:89], v[88:89], v[96:97]
	v_add_f64 v[90:91], v[90:91], v[98:99]
	v_fma_f64 v[80:81], v[84:85], s[26:27], v[80:81]
	v_fma_f64 v[82:83], v[86:87], s[26:27], -v[82:83]
	v_fma_f64 v[96:97], v[84:85], s[18:19], -v[128:129]
	v_fma_f64 v[98:99], v[86:87], s[18:19], v[130:131]
	v_add_f64 v[104:105], v[140:141], v[104:105]
	v_add_f64 v[106:107], v[142:143], v[106:107]
	v_mul_f64 v[140:141], v[132:133], s[6:7]
	v_mul_f64 v[142:143], v[134:135], s[6:7]
	v_add_f64 v[80:81], v[80:81], v[92:93]
	v_add_f64 v[82:83], v[82:83], v[94:95]
	;; [unrolled: 1-line block ×4, first 2 shown]
	v_fma_f64 v[96:97], v[84:85], s[18:19], v[128:129]
	v_fma_f64 v[98:99], v[86:87], s[18:19], -v[130:131]
	v_mul_f64 v[128:129], v[132:133], s[44:45]
	v_mul_f64 v[130:131], v[134:135], s[44:45]
	v_fma_f64 v[100:101], v[84:85], s[8:9], -v[140:141]
	v_fma_f64 v[102:103], v[86:87], s[8:9], v[142:143]
	v_mul_f64 v[132:133], v[132:133], s[42:43]
	v_mul_f64 v[134:135], v[134:135], s[42:43]
	v_add_f64 v[96:97], v[96:97], v[116:117]
	v_add_f64 v[98:99], v[98:99], v[118:119]
	v_fma_f64 v[116:117], v[84:85], s[34:35], -v[128:129]
	v_fma_f64 v[118:119], v[86:87], s[34:35], v[130:131]
	v_fma_f64 v[128:129], v[84:85], s[34:35], v[128:129]
	v_fma_f64 v[130:131], v[86:87], s[34:35], -v[130:131]
	v_fma_f64 v[140:141], v[84:85], s[8:9], v[140:141]
	v_fma_f64 v[142:143], v[86:87], s[8:9], -v[142:143]
	v_add_f64 v[100:101], v[100:101], v[136:137]
	v_add_f64 v[102:103], v[102:103], v[138:139]
	;; [unrolled: 1-line block ×4, first 2 shown]
	v_add_f64 v[120:121], v[66:67], -v[70:71]
	v_add_f64 v[122:123], v[64:65], -v[68:69]
	v_add_f64 v[64:65], v[64:65], v[68:69]
	v_add_f64 v[66:67], v[66:67], v[70:71]
	v_fma_f64 v[136:137], v[84:85], s[14:15], -v[132:133]
	v_fma_f64 v[138:139], v[86:87], s[14:15], v[134:135]
	v_fma_f64 v[84:85], v[84:85], s[14:15], v[132:133]
	v_fma_f64 v[86:87], v[86:87], s[14:15], -v[134:135]
	v_mul_f64 v[68:69], v[120:121], s[24:25]
	v_mul_f64 v[70:71], v[122:123], s[24:25]
	v_add_f64 v[112:113], v[128:129], v[112:113]
	v_add_f64 v[114:115], v[130:131], v[114:115]
	;; [unrolled: 1-line block ×6, first 2 shown]
	v_fma_f64 v[128:129], v[64:65], s[26:27], -v[68:69]
	v_fma_f64 v[130:131], v[66:67], s[26:27], v[70:71]
	v_mul_f64 v[84:85], v[120:121], s[28:29]
	v_mul_f64 v[86:87], v[122:123], s[28:29]
	v_fma_f64 v[68:69], v[64:65], s[26:27], v[68:69]
	v_fma_f64 v[70:71], v[66:67], s[26:27], -v[70:71]
	v_add_f64 v[124:125], v[136:137], v[124:125]
	v_add_f64 v[126:127], v[138:139], v[126:127]
	;; [unrolled: 1-line block ×4, first 2 shown]
	v_mul_f64 v[128:129], v[120:121], s[12:13]
	v_mul_f64 v[130:131], v[122:123], s[12:13]
	v_fma_f64 v[132:133], v[64:65], s[8:9], -v[84:85]
	v_fma_f64 v[134:135], v[66:67], s[8:9], v[86:87]
	v_add_f64 v[68:69], v[68:69], v[88:89]
	v_add_f64 v[70:71], v[70:71], v[90:91]
	v_fma_f64 v[84:85], v[64:65], s[8:9], v[84:85]
	v_fma_f64 v[86:87], v[66:67], s[8:9], -v[86:87]
	v_fma_f64 v[88:89], v[64:65], s[14:15], -v[128:129]
	v_fma_f64 v[90:91], v[66:67], s[14:15], v[130:131]
	v_add_f64 v[104:105], v[132:133], v[104:105]
	v_add_f64 v[106:107], v[134:135], v[106:107]
	v_mul_f64 v[132:133], v[120:121], s[44:45]
	v_mul_f64 v[134:135], v[122:123], s[44:45]
	v_add_f64 v[80:81], v[84:85], v[80:81]
	v_add_f64 v[82:83], v[86:87], v[82:83]
	;; [unrolled: 1-line block ×4, first 2 shown]
	v_fma_f64 v[88:89], v[64:65], s[14:15], v[128:129]
	v_fma_f64 v[90:91], v[66:67], s[14:15], -v[130:131]
	v_mul_f64 v[128:129], v[120:121], s[40:41]
	v_mul_f64 v[130:131], v[122:123], s[40:41]
	v_fma_f64 v[92:93], v[64:65], s[34:35], -v[132:133]
	v_fma_f64 v[94:95], v[66:67], s[34:35], v[134:135]
	v_fma_f64 v[132:133], v[64:65], s[34:35], v[132:133]
	v_fma_f64 v[134:135], v[66:67], s[34:35], -v[134:135]
	v_add_f64 v[88:89], v[88:89], v[96:97]
	v_add_f64 v[90:91], v[90:91], v[98:99]
	v_fma_f64 v[96:97], v[64:65], s[18:19], -v[128:129]
	v_fma_f64 v[98:99], v[66:67], s[18:19], v[130:131]
	v_add_f64 v[92:93], v[92:93], v[100:101]
	v_add_f64 v[94:95], v[94:95], v[102:103]
	;; [unrolled: 1-line block ×4, first 2 shown]
	v_fma_f64 v[108:109], v[64:65], s[18:19], v[128:129]
	v_fma_f64 v[110:111], v[66:67], s[18:19], -v[130:131]
	v_add_f64 v[96:97], v[96:97], v[116:117]
	v_add_f64 v[98:99], v[98:99], v[118:119]
	v_add_f64 v[116:117], v[58:59], -v[62:63]
	v_add_f64 v[118:119], v[56:57], -v[60:61]
	v_mul_f64 v[120:121], v[120:121], s[16:17]
	v_mul_f64 v[122:123], v[122:123], s[16:17]
	v_add_f64 v[128:129], v[56:57], v[60:61]
	v_add_f64 v[130:131], v[58:59], v[62:63]
	;; [unrolled: 1-line block ×4, first 2 shown]
	v_mul_f64 v[56:57], v[116:117], s[30:31]
	v_mul_f64 v[58:59], v[118:119], s[30:31]
	v_fma_f64 v[112:113], v[64:65], s[20:21], -v[120:121]
	v_fma_f64 v[114:115], v[66:67], s[20:21], v[122:123]
	v_fma_f64 v[60:61], v[64:65], s[20:21], v[120:121]
	v_fma_f64 v[62:63], v[66:67], s[20:21], -v[122:123]
	v_mul_f64 v[120:121], v[116:117], s[40:41]
	v_mul_f64 v[122:123], v[118:119], s[40:41]
	v_fma_f64 v[64:65], v[128:129], s[34:35], -v[56:57]
	v_fma_f64 v[66:67], v[130:131], s[34:35], v[58:59]
	v_add_f64 v[112:113], v[112:113], v[124:125]
	v_add_f64 v[114:115], v[114:115], v[126:127]
	;; [unrolled: 1-line block ×4, first 2 shown]
	v_fma_f64 v[60:61], v[128:129], s[34:35], v[56:57]
	v_fma_f64 v[62:63], v[130:131], s[34:35], -v[58:59]
	v_fma_f64 v[72:73], v[128:129], s[18:19], -v[120:121]
	v_fma_f64 v[74:75], v[130:131], s[18:19], v[122:123]
	v_add_f64 v[56:57], v[64:65], v[76:77]
	v_add_f64 v[58:59], v[66:67], v[78:79]
	v_mul_f64 v[76:77], v[116:117], s[24:25]
	v_mul_f64 v[78:79], v[118:119], s[24:25]
	v_add_f64 v[60:61], v[60:61], v[68:69]
	v_add_f64 v[62:63], v[62:63], v[70:71]
	;; [unrolled: 1-line block ×4, first 2 shown]
	v_fma_f64 v[68:69], v[128:129], s[18:19], v[120:121]
	v_fma_f64 v[70:71], v[130:131], s[18:19], -v[122:123]
	v_mul_f64 v[104:105], v[116:117], s[42:43]
	v_mul_f64 v[106:107], v[118:119], s[42:43]
	v_fma_f64 v[72:73], v[128:129], s[26:27], -v[76:77]
	v_fma_f64 v[74:75], v[130:131], s[26:27], v[78:79]
	v_fma_f64 v[76:77], v[128:129], s[26:27], v[76:77]
	v_fma_f64 v[78:79], v[130:131], s[26:27], -v[78:79]
	v_add_f64 v[68:69], v[68:69], v[80:81]
	v_add_f64 v[70:71], v[70:71], v[82:83]
	v_fma_f64 v[80:81], v[128:129], s[14:15], -v[104:105]
	v_fma_f64 v[82:83], v[130:131], s[14:15], v[106:107]
	v_add_f64 v[72:73], v[72:73], v[84:85]
	v_add_f64 v[74:75], v[74:75], v[86:87]
	;; [unrolled: 1-line block ×4, first 2 shown]
	v_fma_f64 v[84:85], v[128:129], s[14:15], v[104:105]
	v_fma_f64 v[86:87], v[130:131], s[14:15], -v[106:107]
	v_mul_f64 v[88:89], v[116:117], s[16:17]
	v_mul_f64 v[90:91], v[118:119], s[16:17]
	v_add_f64 v[80:81], v[80:81], v[92:93]
	v_add_f64 v[82:83], v[82:83], v[94:95]
	v_mul_f64 v[92:93], v[116:117], s[28:29]
	v_mul_f64 v[94:95], v[118:119], s[28:29]
	v_add_f64 v[84:85], v[84:85], v[100:101]
	v_add_f64 v[86:87], v[86:87], v[102:103]
	v_fma_f64 v[100:101], v[128:129], s[20:21], -v[88:89]
	v_fma_f64 v[102:103], v[130:131], s[20:21], v[90:91]
	v_fma_f64 v[104:105], v[128:129], s[20:21], v[88:89]
	v_fma_f64 v[106:107], v[130:131], s[20:21], -v[90:91]
	v_fma_f64 v[116:117], v[128:129], s[8:9], -v[92:93]
	v_fma_f64 v[118:119], v[130:131], s[8:9], v[94:95]
	v_fma_f64 v[120:121], v[128:129], s[8:9], v[92:93]
	v_fma_f64 v[122:123], v[130:131], s[8:9], -v[94:95]
	v_add_f64 v[88:89], v[100:101], v[96:97]
	v_add_f64 v[90:91], v[102:103], v[98:99]
	;; [unrolled: 1-line block ×3, first 2 shown]
	v_mul_lo_u16_e32 v104, 13, v174
	v_add_f64 v[96:97], v[116:117], v[112:113]
	v_add_f64 v[98:99], v[118:119], v[114:115]
	;; [unrolled: 1-line block ×4, first 2 shown]
	v_lshlrev_b32_e32 v175, 4, v104
	v_add_f64 v[94:95], v[106:107], v[110:111]
	ds_write_b128 v175, v[52:55]
	ds_write_b128 v175, v[56:59] offset:16
	ds_write_b128 v175, v[64:67] offset:32
	;; [unrolled: 1-line block ×12, first 2 shown]
	v_mul_lo_u16_sdwa v52, v174, s33 dst_sel:DWORD dst_unused:UNUSED_PAD src0_sel:BYTE_0 src1_sel:DWORD
	v_lshrrev_b16_e32 v112, 10, v52
	v_mul_lo_u16_e32 v52, 13, v112
	v_sub_u16_e32 v52, v174, v52
	v_and_b32_e32 v113, 0xff, v52
	v_mul_u32_u24_e32 v52, 12, v113
	v_lshlrev_b32_e32 v76, 4, v52
	s_waitcnt lgkmcnt(0)
	s_barrier
	global_load_dwordx4 v[84:87], v76, s[10:11]
	global_load_dwordx4 v[80:83], v76, s[10:11] offset:16
	global_load_dwordx4 v[56:59], v76, s[10:11] offset:32
	;; [unrolled: 1-line block ×10, first 2 shown]
	ds_read_b128 v[100:103], v173 offset:2704
	ds_read_b128 v[104:107], v173 offset:5408
	global_load_dwordx4 v[76:79], v76, s[10:11] offset:160
	v_mul_u32_u24_e32 v112, 0xa9, v112
	s_movk_i32 s33, 0xc0
	s_waitcnt vmcnt(11) lgkmcnt(1)
	v_mul_f64 v[108:109], v[102:103], v[86:87]
	v_mul_f64 v[114:115], v[100:101], v[86:87]
	s_waitcnt vmcnt(10) lgkmcnt(0)
	v_mul_f64 v[118:119], v[106:107], v[82:83]
	v_mul_f64 v[120:121], v[104:105], v[82:83]
	v_fma_f64 v[134:135], v[100:101], v[84:85], -v[108:109]
	v_fma_f64 v[136:137], v[102:103], v[84:85], v[114:115]
	ds_read_b128 v[108:111], v173 offset:8112
	ds_read_b128 v[114:117], v173
	v_fma_f64 v[138:139], v[104:105], v[80:81], -v[118:119]
	v_fma_f64 v[140:141], v[106:107], v[80:81], v[120:121]
	ds_read_b128 v[100:103], v173 offset:10816
	ds_read_b128 v[104:107], v173 offset:13520
	s_waitcnt vmcnt(9) lgkmcnt(3)
	v_mul_f64 v[118:119], v[110:111], v[58:59]
	s_waitcnt lgkmcnt(2)
	v_add_f64 v[120:121], v[114:115], v[134:135]
	v_mul_f64 v[122:123], v[108:109], v[58:59]
	v_add_f64 v[124:125], v[116:117], v[136:137]
	s_waitcnt vmcnt(8) lgkmcnt(1)
	v_mul_f64 v[126:127], v[102:103], v[54:55]
	v_mul_f64 v[128:129], v[100:101], v[54:55]
	v_fma_f64 v[142:143], v[108:109], v[56:57], -v[118:119]
	v_add_f64 v[108:109], v[120:121], v[138:139]
	v_fma_f64 v[144:145], v[110:111], v[56:57], v[122:123]
	v_add_f64 v[110:111], v[124:125], v[140:141]
	v_fma_f64 v[146:147], v[100:101], v[52:53], -v[126:127]
	v_fma_f64 v[148:149], v[102:103], v[52:53], v[128:129]
	s_waitcnt vmcnt(7) lgkmcnt(0)
	v_mul_f64 v[118:119], v[106:107], v[74:75]
	v_mul_f64 v[122:123], v[104:105], v[74:75]
	ds_read_b128 v[100:103], v173 offset:16224
	v_add_f64 v[120:121], v[108:109], v[142:143]
	v_add_f64 v[124:125], v[110:111], v[144:145]
	ds_read_b128 v[108:111], v173 offset:18928
	s_waitcnt vmcnt(6) lgkmcnt(1)
	v_mul_f64 v[126:127], v[102:103], v[70:71]
	v_mul_f64 v[128:129], v[100:101], v[70:71]
	v_fma_f64 v[150:151], v[104:105], v[72:73], -v[118:119]
	v_fma_f64 v[152:153], v[106:107], v[72:73], v[122:123]
	v_add_f64 v[118:119], v[120:121], v[146:147]
	s_waitcnt vmcnt(5) lgkmcnt(0)
	v_mul_f64 v[122:123], v[110:111], v[66:67]
	v_add_f64 v[120:121], v[124:125], v[148:149]
	v_mul_f64 v[124:125], v[108:109], v[66:67]
	v_fma_f64 v[104:105], v[100:101], v[68:69], -v[126:127]
	v_fma_f64 v[106:107], v[102:103], v[68:69], v[128:129]
	ds_read_b128 v[100:103], v173 offset:21632
	v_add_f64 v[126:127], v[118:119], v[150:151]
	v_fma_f64 v[108:109], v[108:109], v[64:65], -v[122:123]
	v_add_f64 v[128:129], v[120:121], v[152:153]
	ds_read_b128 v[118:121], v173 offset:24336
	s_waitcnt vmcnt(4) lgkmcnt(1)
	v_mul_f64 v[154:155], v[102:103], v[62:63]
	v_mul_f64 v[156:157], v[100:101], v[62:63]
	v_fma_f64 v[110:111], v[110:111], v[64:65], v[124:125]
	v_add_f64 v[158:159], v[126:127], v[104:105]
	v_add_f64 v[160:161], v[128:129], v[106:107]
	ds_read_b128 v[122:125], v173 offset:27040
	ds_read_b128 v[126:129], v173 offset:29744
	;; [unrolled: 1-line block ×3, first 2 shown]
	v_fma_f64 v[154:155], v[100:101], v[60:61], -v[154:155]
	v_fma_f64 v[156:157], v[102:103], v[60:61], v[156:157]
	s_waitcnt vmcnt(3) lgkmcnt(3)
	v_mul_f64 v[100:101], v[120:121], v[98:99]
	v_mul_f64 v[102:103], v[118:119], v[98:99]
	v_add_f64 v[158:159], v[158:159], v[108:109]
	s_waitcnt vmcnt(2) lgkmcnt(2)
	v_mul_f64 v[162:163], v[124:125], v[94:95]
	v_add_f64 v[160:161], v[160:161], v[110:111]
	v_mul_f64 v[164:165], v[122:123], v[94:95]
	s_waitcnt vmcnt(1) lgkmcnt(0)
	v_mul_f64 v[166:167], v[130:131], v[90:91]
	v_mul_f64 v[170:171], v[132:133], v[90:91]
	v_fma_f64 v[118:119], v[118:119], v[96:97], -v[100:101]
	v_fma_f64 v[120:121], v[120:121], v[96:97], v[102:103]
	v_add_f64 v[100:101], v[158:159], v[154:155]
	v_fma_f64 v[122:123], v[122:123], v[92:93], -v[162:163]
	v_add_f64 v[102:103], v[160:161], v[156:157]
	v_fma_f64 v[124:125], v[124:125], v[92:93], v[164:165]
	s_waitcnt vmcnt(0)
	v_mul_f64 v[158:159], v[128:129], v[78:79]
	v_mul_f64 v[160:161], v[126:127], v[78:79]
	v_fma_f64 v[132:133], v[132:133], v[88:89], v[166:167]
	v_fma_f64 v[130:131], v[130:131], v[88:89], -v[170:171]
	v_add_f64 v[100:101], v[100:101], v[118:119]
	v_add_f64 v[102:103], v[102:103], v[120:121]
	s_barrier
	v_fma_f64 v[126:127], v[126:127], v[76:77], -v[158:159]
	v_fma_f64 v[128:129], v[128:129], v[76:77], v[160:161]
	v_add_f64 v[162:163], v[136:137], -v[132:133]
	v_add_f64 v[164:165], v[134:135], -v[130:131]
	v_add_f64 v[100:101], v[100:101], v[122:123]
	v_add_f64 v[134:135], v[134:135], v[130:131]
	;; [unrolled: 1-line block ×4, first 2 shown]
	v_add_f64 v[206:207], v[138:139], -v[126:127]
	v_add_f64 v[204:205], v[140:141], -v[128:129]
	v_mul_f64 v[158:159], v[162:163], s[22:23]
	v_mul_f64 v[160:161], v[164:165], s[22:23]
	v_add_f64 v[100:101], v[100:101], v[126:127]
	v_mul_f64 v[176:177], v[162:163], s[6:7]
	v_add_f64 v[102:103], v[102:103], v[128:129]
	v_mul_f64 v[178:179], v[164:165], s[6:7]
	v_mul_f64 v[188:189], v[162:163], s[16:17]
	v_mul_f64 v[190:191], v[164:165], s[16:17]
	v_mul_f64 v[192:193], v[162:163], s[24:25]
	v_mul_f64 v[194:195], v[164:165], s[24:25]
	v_add_f64 v[100:101], v[100:101], v[130:131]
	v_mul_f64 v[130:131], v[162:163], s[12:13]
	v_add_f64 v[102:103], v[102:103], v[132:133]
	v_mul_f64 v[132:133], v[164:165], s[12:13]
	v_mul_f64 v[162:163], v[162:163], s[30:31]
	;; [unrolled: 1-line block ×3, first 2 shown]
	v_fma_f64 v[166:167], v[134:135], s[18:19], -v[158:159]
	v_fma_f64 v[170:171], v[136:137], s[18:19], v[160:161]
	v_fma_f64 v[158:159], v[134:135], s[18:19], v[158:159]
	v_fma_f64 v[160:161], v[136:137], s[18:19], -v[160:161]
	v_fma_f64 v[180:181], v[134:135], s[14:15], -v[130:131]
	v_fma_f64 v[182:183], v[136:137], s[14:15], v[132:133]
	v_fma_f64 v[130:131], v[134:135], s[14:15], v[130:131]
	v_fma_f64 v[132:133], v[136:137], s[14:15], -v[132:133]
	;; [unrolled: 4-line block ×5, first 2 shown]
	v_add_f64 v[126:127], v[138:139], v[126:127]
	v_add_f64 v[128:129], v[140:141], v[128:129]
	v_mul_f64 v[138:139], v[204:205], s[12:13]
	v_mul_f64 v[140:141], v[206:207], s[12:13]
	v_fma_f64 v[208:209], v[134:135], s[34:35], -v[162:163]
	v_fma_f64 v[210:211], v[136:137], s[34:35], v[164:165]
	v_fma_f64 v[134:135], v[134:135], s[34:35], v[162:163]
	v_fma_f64 v[136:137], v[136:137], s[34:35], -v[164:165]
	v_add_f64 v[166:167], v[114:115], v[166:167]
	v_add_f64 v[170:171], v[116:117], v[170:171]
	;; [unrolled: 1-line block ×20, first 2 shown]
	v_fma_f64 v[192:193], v[126:127], s[14:15], -v[138:139]
	v_fma_f64 v[194:195], v[128:129], s[14:15], v[140:141]
	v_add_f64 v[208:209], v[114:115], v[208:209]
	v_add_f64 v[210:211], v[116:117], v[210:211]
	;; [unrolled: 1-line block ×4, first 2 shown]
	v_mul_f64 v[134:135], v[204:205], s[16:17]
	v_mul_f64 v[136:137], v[206:207], s[16:17]
	v_add_f64 v[166:167], v[192:193], v[166:167]
	v_add_f64 v[170:171], v[194:195], v[170:171]
	v_fma_f64 v[138:139], v[126:127], s[14:15], v[138:139]
	v_fma_f64 v[140:141], v[128:129], s[14:15], -v[140:141]
	v_mul_f64 v[192:193], v[204:205], s[30:31]
	v_mul_f64 v[194:195], v[206:207], s[30:31]
	v_fma_f64 v[212:213], v[126:127], s[20:21], -v[134:135]
	v_fma_f64 v[214:215], v[128:129], s[20:21], v[136:137]
	v_fma_f64 v[134:135], v[126:127], s[20:21], v[134:135]
	v_fma_f64 v[136:137], v[128:129], s[20:21], -v[136:137]
	v_add_f64 v[138:139], v[138:139], v[158:159]
	v_add_f64 v[140:141], v[140:141], v[160:161]
	v_fma_f64 v[158:159], v[126:127], s[34:35], -v[192:193]
	v_fma_f64 v[160:161], v[128:129], s[34:35], v[194:195]
	v_add_f64 v[180:181], v[212:213], v[180:181]
	v_add_f64 v[182:183], v[214:215], v[182:183]
	;; [unrolled: 1-line block ×4, first 2 shown]
	v_mul_f64 v[134:135], v[204:205], s[36:37]
	v_mul_f64 v[136:137], v[206:207], s[36:37]
	v_add_f64 v[158:159], v[158:159], v[184:185]
	v_add_f64 v[160:161], v[160:161], v[186:187]
	v_mul_f64 v[184:185], v[204:205], s[28:29]
	v_mul_f64 v[186:187], v[206:207], s[28:29]
	v_fma_f64 v[192:193], v[126:127], s[34:35], v[192:193]
	v_fma_f64 v[194:195], v[128:129], s[34:35], -v[194:195]
	v_fma_f64 v[212:213], v[126:127], s[26:27], -v[134:135]
	v_fma_f64 v[214:215], v[128:129], s[26:27], v[136:137]
	v_fma_f64 v[134:135], v[126:127], s[26:27], v[134:135]
	v_fma_f64 v[136:137], v[128:129], s[26:27], -v[136:137]
	v_fma_f64 v[216:217], v[126:127], s[8:9], -v[184:185]
	v_fma_f64 v[218:219], v[128:129], s[8:9], v[186:187]
	v_add_f64 v[176:177], v[192:193], v[176:177]
	v_add_f64 v[178:179], v[194:195], v[178:179]
	;; [unrolled: 1-line block ×4, first 2 shown]
	v_add_f64 v[196:197], v[144:145], -v[124:125]
	v_add_f64 v[198:199], v[142:143], -v[122:123]
	v_add_f64 v[134:135], v[134:135], v[188:189]
	v_add_f64 v[136:137], v[136:137], v[190:191]
	;; [unrolled: 1-line block ×4, first 2 shown]
	v_mul_f64 v[200:201], v[204:205], s[40:41]
	v_mul_f64 v[202:203], v[206:207], s[40:41]
	v_fma_f64 v[184:185], v[126:127], s[8:9], v[184:185]
	v_fma_f64 v[186:187], v[128:129], s[8:9], -v[186:187]
	v_add_f64 v[122:123], v[142:143], v[122:123]
	v_add_f64 v[124:125], v[144:145], v[124:125]
	v_mul_f64 v[142:143], v[196:197], s[6:7]
	v_mul_f64 v[144:145], v[198:199], s[6:7]
	v_fma_f64 v[204:205], v[126:127], s[18:19], -v[200:201]
	v_fma_f64 v[206:207], v[128:129], s[18:19], v[202:203]
	v_fma_f64 v[126:127], v[126:127], s[18:19], v[200:201]
	v_fma_f64 v[128:129], v[128:129], s[18:19], -v[202:203]
	v_add_f64 v[162:163], v[184:185], v[162:163]
	v_add_f64 v[164:165], v[186:187], v[164:165]
	v_fma_f64 v[184:185], v[122:123], s[8:9], -v[142:143]
	v_fma_f64 v[186:187], v[124:125], s[8:9], v[144:145]
	v_fma_f64 v[142:143], v[122:123], s[8:9], v[142:143]
	v_fma_f64 v[144:145], v[124:125], s[8:9], -v[144:145]
	v_add_f64 v[114:115], v[126:127], v[114:115]
	v_add_f64 v[116:117], v[128:129], v[116:117]
	v_mul_f64 v[126:127], v[196:197], s[30:31]
	v_mul_f64 v[128:129], v[198:199], s[30:31]
	v_add_f64 v[166:167], v[184:185], v[166:167]
	v_add_f64 v[170:171], v[186:187], v[170:171]
	v_mul_f64 v[184:185], v[196:197], s[38:39]
	v_mul_f64 v[186:187], v[198:199], s[38:39]
	v_add_f64 v[200:201], v[204:205], v[208:209]
	v_add_f64 v[202:203], v[206:207], v[210:211]
	v_fma_f64 v[204:205], v[122:123], s[34:35], -v[126:127]
	v_fma_f64 v[206:207], v[124:125], s[34:35], v[128:129]
	v_fma_f64 v[126:127], v[122:123], s[34:35], v[126:127]
	v_fma_f64 v[128:129], v[124:125], s[34:35], -v[128:129]
	v_add_f64 v[138:139], v[142:143], v[138:139]
	v_add_f64 v[140:141], v[144:145], v[140:141]
	v_fma_f64 v[142:143], v[122:123], s[20:21], -v[184:185]
	v_fma_f64 v[144:145], v[124:125], s[20:21], v[186:187]
	v_add_f64 v[180:181], v[204:205], v[180:181]
	v_add_f64 v[182:183], v[206:207], v[182:183]
	;; [unrolled: 1-line block ×4, first 2 shown]
	v_mul_f64 v[130:131], v[196:197], s[40:41]
	v_mul_f64 v[132:133], v[198:199], s[40:41]
	v_add_f64 v[142:143], v[142:143], v[158:159]
	v_add_f64 v[144:145], v[144:145], v[160:161]
	v_mul_f64 v[158:159], v[196:197], s[12:13]
	v_mul_f64 v[160:161], v[198:199], s[12:13]
	v_fma_f64 v[184:185], v[122:123], s[20:21], v[184:185]
	v_fma_f64 v[186:187], v[124:125], s[20:21], -v[186:187]
	v_fma_f64 v[204:205], v[122:123], s[18:19], -v[130:131]
	v_fma_f64 v[206:207], v[124:125], s[18:19], v[132:133]
	v_fma_f64 v[130:131], v[122:123], s[18:19], v[130:131]
	v_fma_f64 v[132:133], v[124:125], s[18:19], -v[132:133]
	v_fma_f64 v[208:209], v[122:123], s[14:15], -v[158:159]
	v_fma_f64 v[210:211], v[124:125], s[14:15], v[160:161]
	v_add_f64 v[176:177], v[184:185], v[176:177]
	v_add_f64 v[178:179], v[186:187], v[178:179]
	;; [unrolled: 1-line block ×8, first 2 shown]
	v_add_f64 v[188:189], v[148:149], -v[120:121]
	v_add_f64 v[190:191], v[146:147], -v[118:119]
	v_mul_f64 v[192:193], v[196:197], s[24:25]
	v_mul_f64 v[194:195], v[198:199], s[24:25]
	v_fma_f64 v[158:159], v[122:123], s[14:15], v[158:159]
	v_fma_f64 v[160:161], v[124:125], s[14:15], -v[160:161]
	v_add_f64 v[118:119], v[146:147], v[118:119]
	v_add_f64 v[120:121], v[148:149], v[120:121]
	v_mul_f64 v[146:147], v[188:189], s[16:17]
	v_mul_f64 v[148:149], v[190:191], s[16:17]
	v_fma_f64 v[196:197], v[122:123], s[26:27], -v[192:193]
	v_fma_f64 v[198:199], v[124:125], s[26:27], v[194:195]
	v_fma_f64 v[122:123], v[122:123], s[26:27], v[192:193]
	v_fma_f64 v[124:125], v[124:125], s[26:27], -v[194:195]
	v_add_f64 v[158:159], v[158:159], v[162:163]
	v_add_f64 v[160:161], v[160:161], v[164:165]
	v_fma_f64 v[162:163], v[118:119], s[20:21], -v[146:147]
	v_fma_f64 v[164:165], v[120:121], s[20:21], v[148:149]
	v_fma_f64 v[146:147], v[118:119], s[20:21], v[146:147]
	v_fma_f64 v[148:149], v[120:121], s[20:21], -v[148:149]
	v_add_f64 v[114:115], v[122:123], v[114:115]
	v_add_f64 v[116:117], v[124:125], v[116:117]
	v_mul_f64 v[122:123], v[188:189], s[36:37]
	v_mul_f64 v[124:125], v[190:191], s[36:37]
	v_add_f64 v[162:163], v[162:163], v[166:167]
	v_add_f64 v[164:165], v[164:165], v[170:171]
	v_mul_f64 v[166:167], v[188:189], s[40:41]
	v_mul_f64 v[170:171], v[190:191], s[40:41]
	v_add_f64 v[192:193], v[196:197], v[200:201]
	v_add_f64 v[194:195], v[198:199], v[202:203]
	v_fma_f64 v[196:197], v[118:119], s[26:27], -v[122:123]
	v_fma_f64 v[198:199], v[120:121], s[26:27], v[124:125]
	v_fma_f64 v[122:123], v[118:119], s[26:27], v[122:123]
	v_fma_f64 v[124:125], v[120:121], s[26:27], -v[124:125]
	v_add_f64 v[138:139], v[146:147], v[138:139]
	v_add_f64 v[140:141], v[148:149], v[140:141]
	v_fma_f64 v[146:147], v[118:119], s[18:19], -v[166:167]
	v_fma_f64 v[148:149], v[120:121], s[18:19], v[170:171]
	v_add_f64 v[180:181], v[196:197], v[180:181]
	v_add_f64 v[182:183], v[198:199], v[182:183]
	;; [unrolled: 1-line block ×4, first 2 shown]
	v_mul_f64 v[126:127], v[188:189], s[6:7]
	v_mul_f64 v[128:129], v[190:191], s[6:7]
	v_add_f64 v[142:143], v[146:147], v[142:143]
	v_add_f64 v[144:145], v[148:149], v[144:145]
	v_fma_f64 v[146:147], v[118:119], s[18:19], v[166:167]
	v_fma_f64 v[148:149], v[120:121], s[18:19], -v[170:171]
	v_mul_f64 v[166:167], v[188:189], s[44:45]
	v_mul_f64 v[170:171], v[190:191], s[44:45]
	v_fma_f64 v[196:197], v[118:119], s[8:9], -v[126:127]
	v_fma_f64 v[198:199], v[120:121], s[8:9], v[128:129]
	v_fma_f64 v[126:127], v[118:119], s[8:9], v[126:127]
	v_fma_f64 v[128:129], v[120:121], s[8:9], -v[128:129]
	v_add_f64 v[146:147], v[146:147], v[176:177]
	v_add_f64 v[148:149], v[148:149], v[178:179]
	v_fma_f64 v[176:177], v[118:119], s[34:35], -v[166:167]
	v_fma_f64 v[178:179], v[120:121], s[34:35], v[170:171]
	v_fma_f64 v[166:167], v[118:119], s[34:35], v[166:167]
	v_fma_f64 v[170:171], v[120:121], s[34:35], -v[170:171]
	v_add_f64 v[126:127], v[126:127], v[130:131]
	v_add_f64 v[128:129], v[128:129], v[132:133]
	v_mul_f64 v[130:131], v[188:189], s[42:43]
	v_mul_f64 v[132:133], v[190:191], s[42:43]
	v_add_f64 v[134:135], v[176:177], v[134:135]
	v_add_f64 v[136:137], v[178:179], v[136:137]
	v_add_f64 v[176:177], v[152:153], -v[156:157]
	v_add_f64 v[178:179], v[150:151], -v[154:155]
	v_add_f64 v[150:151], v[150:151], v[154:155]
	v_add_f64 v[152:153], v[152:153], v[156:157]
	v_fma_f64 v[188:189], v[118:119], s[14:15], -v[130:131]
	v_fma_f64 v[190:191], v[120:121], s[14:15], v[132:133]
	v_fma_f64 v[118:119], v[118:119], s[14:15], v[130:131]
	v_fma_f64 v[120:121], v[120:121], s[14:15], -v[132:133]
	v_mul_f64 v[154:155], v[176:177], s[24:25]
	v_mul_f64 v[156:157], v[178:179], s[24:25]
	v_add_f64 v[130:131], v[166:167], v[158:159]
	v_add_f64 v[132:133], v[170:171], v[160:161]
	;; [unrolled: 1-line block ×6, first 2 shown]
	v_fma_f64 v[166:167], v[150:151], s[26:27], -v[154:155]
	v_fma_f64 v[170:171], v[152:153], s[26:27], v[156:157]
	v_mul_f64 v[118:119], v[176:177], s[28:29]
	v_mul_f64 v[120:121], v[178:179], s[28:29]
	v_fma_f64 v[154:155], v[150:151], s[26:27], v[154:155]
	v_fma_f64 v[156:157], v[152:153], s[26:27], -v[156:157]
	v_add_f64 v[184:185], v[196:197], v[184:185]
	v_add_f64 v[186:187], v[198:199], v[186:187]
	;; [unrolled: 1-line block ×4, first 2 shown]
	v_mul_f64 v[166:167], v[176:177], s[12:13]
	v_mul_f64 v[170:171], v[178:179], s[12:13]
	v_fma_f64 v[188:189], v[150:151], s[8:9], -v[118:119]
	v_fma_f64 v[190:191], v[152:153], s[8:9], v[120:121]
	v_add_f64 v[138:139], v[154:155], v[138:139]
	v_add_f64 v[140:141], v[156:157], v[140:141]
	v_fma_f64 v[118:119], v[150:151], s[8:9], v[118:119]
	v_fma_f64 v[120:121], v[152:153], s[8:9], -v[120:121]
	v_fma_f64 v[154:155], v[150:151], s[14:15], -v[166:167]
	v_fma_f64 v[156:157], v[152:153], s[14:15], v[170:171]
	v_add_f64 v[180:181], v[188:189], v[180:181]
	v_add_f64 v[182:183], v[190:191], v[182:183]
	v_mul_f64 v[188:189], v[176:177], s[44:45]
	v_mul_f64 v[190:191], v[178:179], s[44:45]
	v_add_f64 v[118:119], v[118:119], v[122:123]
	v_add_f64 v[120:121], v[120:121], v[124:125]
	v_add_f64 v[122:123], v[154:155], v[142:143]
	v_add_f64 v[124:125], v[156:157], v[144:145]
	v_fma_f64 v[142:143], v[150:151], s[14:15], v[166:167]
	v_fma_f64 v[144:145], v[152:153], s[14:15], -v[170:171]
	v_fma_f64 v[154:155], v[150:151], s[34:35], -v[188:189]
	v_fma_f64 v[156:157], v[152:153], s[34:35], v[190:191]
	v_mul_f64 v[166:167], v[176:177], s[40:41]
	v_mul_f64 v[170:171], v[178:179], s[40:41]
	v_fma_f64 v[188:189], v[150:151], s[34:35], v[188:189]
	v_fma_f64 v[190:191], v[152:153], s[34:35], -v[190:191]
	v_add_f64 v[142:143], v[142:143], v[146:147]
	v_add_f64 v[144:145], v[144:145], v[148:149]
	;; [unrolled: 1-line block ×4, first 2 shown]
	v_fma_f64 v[154:155], v[150:151], s[18:19], -v[166:167]
	v_fma_f64 v[156:157], v[152:153], s[18:19], v[170:171]
	v_add_f64 v[184:185], v[188:189], v[126:127]
	v_add_f64 v[186:187], v[190:191], v[128:129]
	v_fma_f64 v[126:127], v[150:151], s[18:19], v[166:167]
	v_fma_f64 v[128:129], v[152:153], s[18:19], -v[170:171]
	v_mul_f64 v[166:167], v[176:177], s[16:17]
	v_mul_f64 v[170:171], v[178:179], s[16:17]
	v_add_f64 v[154:155], v[154:155], v[134:135]
	v_add_f64 v[156:157], v[156:157], v[136:137]
	v_add_f64 v[134:135], v[106:107], -v[110:111]
	v_add_f64 v[136:137], v[104:105], -v[108:109]
	v_add_f64 v[188:189], v[104:105], v[108:109]
	v_add_f64 v[190:191], v[106:107], v[110:111]
	;; [unrolled: 1-line block ×4, first 2 shown]
	v_fma_f64 v[126:127], v[150:151], s[20:21], -v[166:167]
	v_fma_f64 v[128:129], v[152:153], s[20:21], v[170:171]
	v_mul_f64 v[104:105], v[134:135], s[30:31]
	v_mul_f64 v[106:107], v[136:137], s[30:31]
	v_fma_f64 v[108:109], v[150:151], s[20:21], v[166:167]
	v_fma_f64 v[110:111], v[152:153], s[20:21], -v[170:171]
	v_add_f64 v[150:151], v[126:127], v[158:159]
	v_add_f64 v[152:153], v[128:129], v[160:161]
	v_fma_f64 v[130:131], v[188:189], s[34:35], -v[104:105]
	v_fma_f64 v[132:133], v[190:191], s[34:35], v[106:107]
	v_add_f64 v[158:159], v[108:109], v[114:115]
	v_add_f64 v[160:161], v[110:111], v[116:117]
	v_fma_f64 v[108:109], v[188:189], s[34:35], v[104:105]
	v_fma_f64 v[110:111], v[190:191], s[34:35], -v[106:107]
	v_mul_f64 v[126:127], v[134:135], s[40:41]
	v_mul_f64 v[128:129], v[136:137], s[40:41]
	v_add_f64 v[104:105], v[130:131], v[162:163]
	v_add_f64 v[106:107], v[132:133], v[164:165]
	v_mul_f64 v[130:131], v[134:135], s[24:25]
	v_mul_f64 v[132:133], v[136:137], s[24:25]
	v_add_f64 v[108:109], v[108:109], v[138:139]
	v_add_f64 v[110:111], v[110:111], v[140:141]
	v_mul_f64 v[162:163], v[134:135], s[42:43]
	v_mul_f64 v[164:165], v[136:137], s[42:43]
	v_fma_f64 v[114:115], v[188:189], s[18:19], -v[126:127]
	v_fma_f64 v[116:117], v[190:191], s[18:19], v[128:129]
	v_fma_f64 v[138:139], v[188:189], s[26:27], -v[130:131]
	v_fma_f64 v[140:141], v[190:191], s[26:27], v[132:133]
	v_fma_f64 v[126:127], v[188:189], s[18:19], v[126:127]
	v_fma_f64 v[128:129], v[190:191], s[18:19], -v[128:129]
	v_fma_f64 v[130:131], v[188:189], s[26:27], v[130:131]
	v_fma_f64 v[132:133], v[190:191], s[26:27], -v[132:133]
	v_add_f64 v[114:115], v[114:115], v[180:181]
	v_add_f64 v[116:117], v[116:117], v[182:183]
	;; [unrolled: 1-line block ×4, first 2 shown]
	v_fma_f64 v[138:139], v[188:189], s[14:15], -v[162:163]
	v_fma_f64 v[140:141], v[190:191], s[14:15], v[164:165]
	v_add_f64 v[118:119], v[126:127], v[118:119]
	v_add_f64 v[120:121], v[128:129], v[120:121]
	;; [unrolled: 1-line block ×4, first 2 shown]
	v_fma_f64 v[142:143], v[188:189], s[14:15], v[162:163]
	v_fma_f64 v[144:145], v[190:191], s[14:15], -v[164:165]
	v_mul_f64 v[162:163], v[134:135], s[16:17]
	v_mul_f64 v[164:165], v[136:137], s[16:17]
	v_add_f64 v[130:131], v[138:139], v[146:147]
	v_add_f64 v[132:133], v[140:141], v[148:149]
	v_mul_f64 v[138:139], v[134:135], s[28:29]
	v_mul_f64 v[140:141], v[136:137], s[28:29]
	v_add_f64 v[134:135], v[142:143], v[184:185]
	v_add_f64 v[136:137], v[144:145], v[186:187]
	v_fma_f64 v[142:143], v[188:189], s[20:21], -v[162:163]
	v_fma_f64 v[144:145], v[190:191], s[20:21], v[164:165]
	v_fma_f64 v[146:147], v[188:189], s[20:21], v[162:163]
	v_fma_f64 v[148:149], v[190:191], s[20:21], -v[164:165]
	v_fma_f64 v[162:163], v[188:189], s[8:9], -v[138:139]
	v_fma_f64 v[164:165], v[190:191], s[8:9], v[140:141]
	v_fma_f64 v[166:167], v[188:189], s[8:9], v[138:139]
	v_fma_f64 v[170:171], v[190:191], s[8:9], -v[140:141]
	v_add_f64 v[138:139], v[142:143], v[154:155]
	v_add_f64 v[140:141], v[144:145], v[156:157]
	;; [unrolled: 1-line block ×8, first 2 shown]
	v_add_lshl_u32 v176, v112, v113, 4
	ds_write_b128 v176, v[100:103]
	ds_write_b128 v176, v[104:107] offset:208
	ds_write_b128 v176, v[114:117] offset:416
	;; [unrolled: 1-line block ×12, first 2 shown]
	v_mov_b32_e32 v101, s11
	v_mov_b32_e32 v100, s10
	v_mad_u64_u32 v[124:125], s[10:11], v174, s33, v[100:101]
	s_waitcnt lgkmcnt(0)
	s_barrier
	global_load_dwordx4 v[132:135], v[124:125], off offset:2496
	global_load_dwordx4 v[128:131], v[124:125], off offset:2512
	;; [unrolled: 1-line block ×10, first 2 shown]
	ds_read_b128 v[148:151], v173 offset:2704
	global_load_dwordx4 v[136:139], v[124:125], off offset:2672
	s_nop 0
	global_load_dwordx4 v[124:127], v[124:125], off offset:2656
	ds_read_b128 v[152:155], v173 offset:5408
	ds_read_b128 v[177:180], v173
	ds_read_b128 v[156:159], v173 offset:8112
	s_mov_b32 s11, 0x8000
	s_mov_b32 s10, 0x8950
	s_waitcnt vmcnt(11) lgkmcnt(3)
	v_mul_f64 v[160:161], v[150:151], v[134:135]
	v_mul_f64 v[162:163], v[148:149], v[134:135]
	s_waitcnt vmcnt(10) lgkmcnt(2)
	v_mul_f64 v[164:165], v[154:155], v[130:131]
	v_mul_f64 v[166:167], v[152:153], v[130:131]
	v_fma_f64 v[170:171], v[148:149], v[132:133], -v[160:161]
	v_fma_f64 v[193:194], v[150:151], v[132:133], v[162:163]
	ds_read_b128 v[148:151], v173 offset:10816
	v_fma_f64 v[195:196], v[152:153], v[128:129], -v[164:165]
	s_waitcnt vmcnt(9) lgkmcnt(1)
	v_mul_f64 v[160:161], v[158:159], v[106:107]
	v_fma_f64 v[197:198], v[154:155], v[128:129], v[166:167]
	v_mul_f64 v[162:163], v[156:157], v[106:107]
	s_waitcnt vmcnt(8) lgkmcnt(0)
	v_mul_f64 v[181:182], v[150:151], v[102:103]
	v_add_f64 v[164:165], v[177:178], v[170:171]
	v_add_f64 v[166:167], v[179:180], v[193:194]
	v_mul_f64 v[183:184], v[148:149], v[102:103]
	ds_read_b128 v[152:155], v173 offset:13520
	v_fma_f64 v[199:200], v[156:157], v[104:105], -v[160:161]
	v_fma_f64 v[201:202], v[158:159], v[104:105], v[162:163]
	v_fma_f64 v[203:204], v[148:149], v[100:101], -v[181:182]
	v_add_f64 v[156:157], v[164:165], v[195:196]
	v_add_f64 v[158:159], v[166:167], v[197:198]
	v_fma_f64 v[205:206], v[150:151], v[100:101], v[183:184]
	ds_read_b128 v[148:151], v173 offset:16224
	s_waitcnt vmcnt(7) lgkmcnt(1)
	v_mul_f64 v[160:161], v[154:155], v[122:123]
	v_mul_f64 v[162:163], v[152:153], v[122:123]
	v_add_f64 v[164:165], v[156:157], v[199:200]
	v_add_f64 v[166:167], v[158:159], v[201:202]
	s_waitcnt vmcnt(6) lgkmcnt(0)
	v_mul_f64 v[181:182], v[150:151], v[118:119]
	v_mul_f64 v[183:184], v[148:149], v[118:119]
	v_fma_f64 v[160:161], v[152:153], v[120:121], -v[160:161]
	ds_read_b128 v[156:159], v173 offset:18928
	v_fma_f64 v[162:163], v[154:155], v[120:121], v[162:163]
	v_add_f64 v[164:165], v[164:165], v[203:204]
	v_add_f64 v[166:167], v[166:167], v[205:206]
	v_fma_f64 v[152:153], v[148:149], v[116:117], -v[181:182]
	v_fma_f64 v[154:155], v[150:151], v[116:117], v[183:184]
	ds_read_b128 v[148:151], v173 offset:21632
	s_waitcnt vmcnt(5) lgkmcnt(1)
	v_mul_f64 v[185:186], v[158:159], v[114:115]
	v_mul_f64 v[187:188], v[156:157], v[114:115]
	ds_read_b128 v[181:184], v173 offset:24336
	v_add_f64 v[164:165], v[164:165], v[160:161]
	v_add_f64 v[166:167], v[166:167], v[162:163]
	s_waitcnt vmcnt(4) lgkmcnt(1)
	v_mul_f64 v[189:190], v[150:151], v[110:111]
	v_mul_f64 v[191:192], v[148:149], v[110:111]
	v_fma_f64 v[156:157], v[156:157], v[112:113], -v[185:186]
	v_fma_f64 v[158:159], v[158:159], v[112:113], v[187:188]
	ds_read_b128 v[185:188], v173 offset:27040
	v_add_f64 v[207:208], v[164:165], v[152:153]
	v_add_f64 v[209:210], v[166:167], v[154:155]
	v_fma_f64 v[164:165], v[148:149], v[108:109], -v[189:190]
	s_waitcnt vmcnt(3) lgkmcnt(1)
	v_mul_f64 v[211:212], v[183:184], v[146:147]
	v_fma_f64 v[166:167], v[150:151], v[108:109], v[191:192]
	v_mul_f64 v[213:214], v[181:182], v[146:147]
	s_waitcnt vmcnt(2) lgkmcnt(0)
	v_mul_f64 v[215:216], v[187:188], v[142:143]
	ds_read_b128 v[148:151], v173 offset:29744
	ds_read_b128 v[189:192], v173 offset:32448
	v_add_f64 v[207:208], v[207:208], v[156:157]
	v_add_f64 v[209:210], v[209:210], v[158:159]
	v_mul_f64 v[217:218], v[185:186], v[142:143]
	v_fma_f64 v[181:182], v[181:182], v[144:145], -v[211:212]
	s_waitcnt vmcnt(1) lgkmcnt(0)
	v_mul_f64 v[211:212], v[189:190], v[138:139]
	v_fma_f64 v[183:184], v[183:184], v[144:145], v[213:214]
	v_fma_f64 v[185:186], v[185:186], v[140:141], -v[215:216]
	s_waitcnt vmcnt(0)
	v_mul_f64 v[215:216], v[150:151], v[126:127]
	v_add_f64 v[207:208], v[207:208], v[164:165]
	v_add_f64 v[209:210], v[209:210], v[166:167]
	v_fma_f64 v[187:188], v[187:188], v[140:141], v[217:218]
	v_mul_f64 v[213:214], v[191:192], v[138:139]
	v_mul_f64 v[217:218], v[148:149], v[126:127]
	v_fma_f64 v[191:192], v[191:192], v[136:137], v[211:212]
	v_fma_f64 v[211:212], v[148:149], v[124:125], -v[215:216]
	v_add_f64 v[207:208], v[207:208], v[181:182]
	v_add_f64 v[209:210], v[209:210], v[183:184]
	v_fma_f64 v[189:190], v[189:190], v[136:137], -v[213:214]
	v_fma_f64 v[213:214], v[150:151], v[124:125], v[217:218]
	v_add_f64 v[148:149], v[207:208], v[185:186]
	v_add_f64 v[150:151], v[209:210], v[187:188]
	v_add_f64 v[207:208], v[193:194], -v[191:192]
	v_add_f64 v[209:210], v[170:171], -v[189:190]
	v_add_f64 v[170:171], v[170:171], v[189:190]
	v_add_f64 v[193:194], v[193:194], v[191:192]
	;; [unrolled: 1-line block ×4, first 2 shown]
	v_mul_f64 v[215:216], v[207:208], s[22:23]
	v_mul_f64 v[223:224], v[207:208], s[6:7]
	;; [unrolled: 1-line block ×6, first 2 shown]
	v_add_f64 v[148:149], v[148:149], v[189:190]
	v_mul_f64 v[189:190], v[207:208], s[12:13]
	v_mul_f64 v[207:208], v[207:208], s[30:31]
	v_add_f64 v[150:151], v[150:151], v[191:192]
	v_mul_f64 v[191:192], v[209:210], s[12:13]
	v_fma_f64 v[219:220], v[170:171], s[18:19], -v[215:216]
	v_fma_f64 v[215:216], v[170:171], s[18:19], v[215:216]
	v_mul_f64 v[233:234], v[209:210], s[16:17]
	v_fma_f64 v[235:236], v[170:171], s[8:9], -v[223:224]
	v_fma_f64 v[229:230], v[170:171], s[14:15], -v[189:190]
	v_fma_f64 v[189:190], v[170:171], s[14:15], v[189:190]
	v_fma_f64 v[223:224], v[170:171], s[8:9], v[223:224]
	v_fma_f64 v[237:238], v[170:171], s[20:21], -v[227:228]
	v_fma_f64 v[227:228], v[170:171], s[20:21], v[227:228]
	v_fma_f64 v[239:240], v[170:171], s[26:27], -v[231:232]
	;; [unrolled: 2-line block ×3, first 2 shown]
	v_fma_f64 v[170:171], v[170:171], s[34:35], v[207:208]
	v_mul_f64 v[207:208], v[209:210], s[24:25]
	v_mul_f64 v[209:210], v[209:210], s[30:31]
	v_fma_f64 v[221:222], v[193:194], s[18:19], v[217:218]
	v_fma_f64 v[217:218], v[193:194], s[18:19], -v[217:218]
	v_fma_f64 v[243:244], v[193:194], s[14:15], v[191:192]
	v_fma_f64 v[191:192], v[193:194], s[14:15], -v[191:192]
	;; [unrolled: 2-line block ×6, first 2 shown]
	v_add_f64 v[209:210], v[177:178], v[219:220]
	v_add_f64 v[219:220], v[179:180], v[221:222]
	;; [unrolled: 1-line block ×24, first 2 shown]
	v_add_f64 v[179:180], v[197:198], -v[213:214]
	v_add_f64 v[193:194], v[197:198], v[213:214]
	v_add_f64 v[197:198], v[195:196], v[211:212]
	v_add_f64 v[195:196], v[195:196], -v[211:212]
	v_mul_f64 v[211:212], v[179:180], s[12:13]
	v_fma_f64 v[213:214], v[197:198], s[14:15], -v[211:212]
	v_fma_f64 v[211:212], v[197:198], s[14:15], v[211:212]
	v_add_f64 v[209:210], v[213:214], v[209:210]
	v_mul_f64 v[213:214], v[195:196], s[12:13]
	v_add_f64 v[211:212], v[211:212], v[215:216]
	v_mul_f64 v[215:216], v[179:180], s[16:17]
	v_fma_f64 v[251:252], v[193:194], s[14:15], v[213:214]
	v_fma_f64 v[213:214], v[193:194], s[14:15], -v[213:214]
	v_add_f64 v[219:220], v[251:252], v[219:220]
	v_add_f64 v[213:214], v[213:214], v[217:218]
	v_fma_f64 v[217:218], v[197:198], s[20:21], -v[215:216]
	v_fma_f64 v[215:216], v[197:198], s[20:21], v[215:216]
	v_add_f64 v[217:218], v[217:218], v[221:222]
	v_mul_f64 v[221:222], v[195:196], s[16:17]
	v_add_f64 v[189:190], v[215:216], v[189:190]
	v_fma_f64 v[215:216], v[193:194], s[20:21], -v[221:222]
	v_fma_f64 v[251:252], v[193:194], s[20:21], v[221:222]
	v_add_f64 v[191:192], v[215:216], v[191:192]
	v_mul_f64 v[215:216], v[179:180], s[30:31]
	;; [unrolled: 5-line block ×6, first 2 shown]
	v_mul_f64 v[179:180], v[179:180], s[40:41]
	v_add_f64 v[245:246], v[251:252], v[245:246]
	v_fma_f64 v[237:238], v[197:198], s[8:9], -v[233:234]
	v_fma_f64 v[233:234], v[197:198], s[8:9], v[233:234]
	v_add_f64 v[237:238], v[237:238], v[239:240]
	v_mul_f64 v[239:240], v[195:196], s[28:29]
	v_add_f64 v[231:232], v[233:234], v[231:232]
	v_mul_f64 v[195:196], v[195:196], s[40:41]
	v_fma_f64 v[233:234], v[193:194], s[8:9], -v[239:240]
	v_fma_f64 v[251:252], v[193:194], s[8:9], v[239:240]
	v_add_f64 v[207:208], v[233:234], v[207:208]
	v_fma_f64 v[233:234], v[197:198], s[18:19], -v[179:180]
	v_fma_f64 v[179:180], v[197:198], s[18:19], v[179:180]
	v_fma_f64 v[197:198], v[193:194], s[18:19], v[195:196]
	v_fma_f64 v[193:194], v[193:194], s[18:19], -v[195:196]
	v_add_f64 v[195:196], v[199:200], -v[185:186]
	v_add_f64 v[185:186], v[199:200], v[185:186]
	v_add_f64 v[199:200], v[201:202], -v[187:188]
	v_add_f64 v[187:188], v[201:202], v[187:188]
	v_add_f64 v[201:202], v[233:234], v[241:242]
	;; [unrolled: 1-line block ×6, first 2 shown]
	v_mul_f64 v[179:180], v[199:200], s[6:7]
	v_fma_f64 v[193:194], v[185:186], s[8:9], -v[179:180]
	v_fma_f64 v[179:180], v[185:186], s[8:9], v[179:180]
	v_add_f64 v[193:194], v[193:194], v[209:210]
	v_mul_f64 v[209:210], v[195:196], s[6:7]
	v_add_f64 v[179:180], v[179:180], v[211:212]
	v_mul_f64 v[211:212], v[199:200], s[30:31]
	v_fma_f64 v[233:234], v[187:188], s[8:9], v[209:210]
	v_fma_f64 v[209:210], v[187:188], s[8:9], -v[209:210]
	v_add_f64 v[219:220], v[233:234], v[219:220]
	v_add_f64 v[209:210], v[209:210], v[213:214]
	v_fma_f64 v[213:214], v[185:186], s[34:35], -v[211:212]
	v_fma_f64 v[211:212], v[185:186], s[34:35], v[211:212]
	v_add_f64 v[213:214], v[213:214], v[217:218]
	v_mul_f64 v[217:218], v[195:196], s[30:31]
	v_add_f64 v[189:190], v[211:212], v[189:190]
	v_mul_f64 v[211:212], v[199:200], s[38:39]
	v_fma_f64 v[233:234], v[187:188], s[34:35], v[217:218]
	v_fma_f64 v[217:218], v[187:188], s[34:35], -v[217:218]
	v_add_f64 v[229:230], v[233:234], v[229:230]
	v_add_f64 v[191:192], v[217:218], v[191:192]
	;; [unrolled: 10-line block ×3, first 2 shown]
	v_fma_f64 v[223:224], v[185:186], s[18:19], -v[215:216]
	v_fma_f64 v[215:216], v[185:186], s[18:19], v[215:216]
	v_add_f64 v[243:244], v[203:204], -v[181:182]
	v_add_f64 v[181:182], v[203:204], v[181:182]
	v_add_f64 v[203:204], v[205:206], -v[183:184]
	v_add_f64 v[183:184], v[205:206], v[183:184]
	v_add_f64 v[223:224], v[223:224], v[235:236]
	v_mul_f64 v[235:236], v[195:196], s[40:41]
	v_add_f64 v[215:216], v[215:216], v[225:226]
	v_mul_f64 v[225:226], v[199:200], s[12:13]
	v_mul_f64 v[199:200], v[199:200], s[24:25]
	v_fma_f64 v[239:240], v[187:188], s[18:19], v[235:236]
	v_fma_f64 v[235:236], v[187:188], s[18:19], -v[235:236]
	v_fma_f64 v[205:206], v[185:186], s[14:15], v[225:226]
	v_add_f64 v[239:240], v[239:240], v[245:246]
	v_add_f64 v[227:228], v[235:236], v[227:228]
	v_fma_f64 v[235:236], v[185:186], s[14:15], -v[225:226]
	v_fma_f64 v[225:226], v[185:186], s[26:27], -v[199:200]
	v_fma_f64 v[185:186], v[185:186], s[26:27], v[199:200]
	v_add_f64 v[235:236], v[235:236], v[237:238]
	v_mul_f64 v[237:238], v[195:196], s[12:13]
	v_mul_f64 v[195:196], v[195:196], s[24:25]
	v_add_f64 v[201:202], v[225:226], v[201:202]
	v_add_f64 v[170:171], v[185:186], v[170:171]
	v_mul_f64 v[185:186], v[203:204], s[36:37]
	v_fma_f64 v[199:200], v[187:188], s[14:15], -v[237:238]
	v_fma_f64 v[241:242], v[187:188], s[14:15], v[237:238]
	v_fma_f64 v[237:238], v[187:188], s[26:27], v[195:196]
	v_fma_f64 v[187:188], v[187:188], s[26:27], -v[195:196]
	v_add_f64 v[195:196], v[205:206], v[231:232]
	v_mul_f64 v[205:206], v[203:204], s[16:17]
	v_add_f64 v[199:200], v[199:200], v[207:208]
	v_mul_f64 v[207:208], v[243:244], s[16:17]
	v_add_f64 v[241:242], v[241:242], v[247:248]
	v_add_f64 v[177:178], v[187:188], v[177:178]
	v_add_f64 v[197:198], v[237:238], v[197:198]
	v_fma_f64 v[225:226], v[181:182], s[20:21], -v[205:206]
	v_fma_f64 v[187:188], v[181:182], s[20:21], v[205:206]
	v_mul_f64 v[205:206], v[243:244], s[36:37]
	v_fma_f64 v[231:232], v[183:184], s[20:21], v[207:208]
	v_fma_f64 v[207:208], v[183:184], s[20:21], -v[207:208]
	v_add_f64 v[193:194], v[225:226], v[193:194]
	v_mul_f64 v[225:226], v[203:204], s[40:41]
	v_add_f64 v[179:180], v[187:188], v[179:180]
	v_fma_f64 v[187:188], v[183:184], s[26:27], v[205:206]
	v_add_f64 v[219:220], v[231:232], v[219:220]
	v_fma_f64 v[231:232], v[181:182], s[26:27], -v[185:186]
	v_add_f64 v[207:208], v[207:208], v[209:210]
	v_mul_f64 v[209:210], v[243:244], s[40:41]
	v_fma_f64 v[185:186], v[181:182], s[26:27], v[185:186]
	v_fma_f64 v[205:206], v[183:184], s[26:27], -v[205:206]
	v_add_f64 v[187:188], v[187:188], v[229:230]
	v_add_f64 v[213:214], v[231:232], v[213:214]
	v_fma_f64 v[231:232], v[181:182], s[18:19], -v[225:226]
	v_fma_f64 v[229:230], v[183:184], s[18:19], v[209:210]
	v_add_f64 v[185:186], v[185:186], v[189:190]
	v_add_f64 v[189:190], v[205:206], v[191:192]
	v_mul_f64 v[191:192], v[203:204], s[6:7]
	v_fma_f64 v[209:210], v[183:184], s[18:19], -v[209:210]
	v_fma_f64 v[205:206], v[181:182], s[18:19], v[225:226]
	v_mul_f64 v[225:226], v[243:244], s[6:7]
	v_add_f64 v[217:218], v[231:232], v[217:218]
	v_add_f64 v[229:230], v[229:230], v[233:234]
	v_mul_f64 v[231:232], v[203:204], s[44:45]
	v_mul_f64 v[203:204], v[203:204], s[42:43]
	v_fma_f64 v[233:234], v[181:182], s[8:9], -v[191:192]
	v_add_f64 v[209:210], v[209:210], v[221:222]
	v_mul_f64 v[221:222], v[243:244], s[44:45]
	v_add_f64 v[205:206], v[205:206], v[211:212]
	v_fma_f64 v[211:212], v[183:184], s[8:9], v[225:226]
	v_fma_f64 v[191:192], v[181:182], s[8:9], v[191:192]
	v_fma_f64 v[225:226], v[183:184], s[8:9], -v[225:226]
	v_add_f64 v[223:224], v[233:234], v[223:224]
	v_fma_f64 v[233:234], v[181:182], s[34:35], -v[231:232]
	v_fma_f64 v[237:238], v[183:184], s[34:35], v[221:222]
	v_fma_f64 v[221:222], v[183:184], s[34:35], -v[221:222]
	v_add_f64 v[211:212], v[211:212], v[239:240]
	v_add_f64 v[191:192], v[191:192], v[215:216]
	;; [unrolled: 1-line block ×3, first 2 shown]
	v_mul_f64 v[225:226], v[243:244], s[42:43]
	v_fma_f64 v[231:232], v[181:182], s[34:35], v[231:232]
	v_add_f64 v[227:228], v[233:234], v[235:236]
	v_add_f64 v[233:234], v[237:238], v[241:242]
	v_add_f64 v[235:236], v[162:163], -v[166:167]
	v_add_f64 v[237:238], v[160:161], -v[164:165]
	v_add_f64 v[160:161], v[160:161], v[164:165]
	v_add_f64 v[162:163], v[162:163], v[166:167]
	v_fma_f64 v[241:242], v[183:184], s[14:15], v[225:226]
	v_fma_f64 v[183:184], v[183:184], s[14:15], -v[225:226]
	v_fma_f64 v[239:240], v[181:182], s[14:15], -v[203:204]
	v_fma_f64 v[181:182], v[181:182], s[14:15], v[203:204]
	v_mul_f64 v[164:165], v[235:236], s[24:25]
	v_mul_f64 v[166:167], v[237:238], s[24:25]
	v_add_f64 v[199:200], v[221:222], v[199:200]
	v_add_f64 v[195:196], v[231:232], v[195:196]
	v_add_f64 v[197:198], v[241:242], v[197:198]
	v_add_f64 v[177:178], v[183:184], v[177:178]
	v_mul_f64 v[183:184], v[237:238], s[28:29]
	v_add_f64 v[170:171], v[181:182], v[170:171]
	v_fma_f64 v[203:204], v[160:161], s[26:27], -v[164:165]
	v_fma_f64 v[221:222], v[162:163], s[26:27], v[166:167]
	v_mul_f64 v[181:182], v[235:236], s[28:29]
	v_fma_f64 v[164:165], v[160:161], s[26:27], v[164:165]
	v_fma_f64 v[166:167], v[162:163], s[26:27], -v[166:167]
	v_add_f64 v[201:202], v[239:240], v[201:202]
	v_fma_f64 v[231:232], v[162:163], s[8:9], v[183:184]
	v_add_f64 v[193:194], v[203:204], v[193:194]
	v_add_f64 v[203:204], v[221:222], v[219:220]
	v_mul_f64 v[221:222], v[237:238], s[12:13]
	v_mul_f64 v[219:220], v[235:236], s[12:13]
	v_fma_f64 v[225:226], v[160:161], s[8:9], -v[181:182]
	v_add_f64 v[164:165], v[164:165], v[179:180]
	v_add_f64 v[166:167], v[166:167], v[207:208]
	v_fma_f64 v[179:180], v[160:161], s[8:9], v[181:182]
	v_fma_f64 v[181:182], v[162:163], s[8:9], -v[183:184]
	v_add_f64 v[187:188], v[231:232], v[187:188]
	v_fma_f64 v[207:208], v[162:163], s[14:15], v[221:222]
	v_mul_f64 v[231:232], v[237:238], s[44:45]
	v_fma_f64 v[183:184], v[160:161], s[14:15], -v[219:220]
	v_add_f64 v[213:214], v[225:226], v[213:214]
	v_mul_f64 v[225:226], v[235:236], s[44:45]
	v_add_f64 v[179:180], v[179:180], v[185:186]
	v_add_f64 v[181:182], v[181:182], v[189:190]
	v_fma_f64 v[189:190], v[160:161], s[14:15], v[219:220]
	v_add_f64 v[185:186], v[207:208], v[229:230]
	v_fma_f64 v[207:208], v[162:163], s[14:15], -v[221:222]
	v_fma_f64 v[219:220], v[162:163], s[34:35], v[231:232]
	v_mul_f64 v[221:222], v[235:236], s[40:41]
	v_add_f64 v[183:184], v[183:184], v[217:218]
	v_fma_f64 v[217:218], v[160:161], s[34:35], -v[225:226]
	v_mul_f64 v[229:230], v[237:238], s[40:41]
	v_fma_f64 v[225:226], v[160:161], s[34:35], v[225:226]
	v_add_f64 v[189:190], v[189:190], v[205:206]
	v_add_f64 v[205:206], v[207:208], v[209:210]
	;; [unrolled: 1-line block ×3, first 2 shown]
	v_fma_f64 v[211:212], v[160:161], s[18:19], -v[221:222]
	v_fma_f64 v[231:232], v[162:163], s[34:35], -v[231:232]
	v_add_f64 v[207:208], v[217:218], v[223:224]
	v_fma_f64 v[217:218], v[162:163], s[18:19], v[229:230]
	v_add_f64 v[191:192], v[225:226], v[191:192]
	v_fma_f64 v[219:220], v[160:161], s[18:19], v[221:222]
	v_fma_f64 v[221:222], v[162:163], s[18:19], -v[229:230]
	v_mul_f64 v[223:224], v[235:236], s[16:17]
	v_mul_f64 v[225:226], v[237:238], s[16:17]
	v_add_f64 v[211:212], v[211:212], v[227:228]
	v_add_f64 v[227:228], v[154:155], -v[158:159]
	v_add_f64 v[229:230], v[152:153], -v[156:157]
	v_add_f64 v[215:216], v[231:232], v[215:216]
	v_add_f64 v[217:218], v[217:218], v[233:234]
	;; [unrolled: 1-line block ×4, first 2 shown]
	v_fma_f64 v[195:196], v[160:161], s[20:21], -v[223:224]
	v_fma_f64 v[221:222], v[162:163], s[20:21], v[225:226]
	v_add_f64 v[231:232], v[152:153], v[156:157]
	v_add_f64 v[233:234], v[154:155], v[158:159]
	v_mul_f64 v[152:153], v[227:228], s[30:31]
	v_mul_f64 v[154:155], v[229:230], s[30:31]
	v_fma_f64 v[156:157], v[160:161], s[20:21], v[223:224]
	v_fma_f64 v[158:159], v[162:163], s[20:21], -v[225:226]
	v_add_f64 v[201:202], v[195:196], v[201:202]
	v_add_f64 v[221:222], v[221:222], v[197:198]
	v_mul_f64 v[195:196], v[227:228], s[40:41]
	v_mul_f64 v[197:198], v[229:230], s[40:41]
	v_fma_f64 v[160:161], v[231:232], s[34:35], -v[152:153]
	v_fma_f64 v[162:163], v[233:234], s[34:35], v[154:155]
	v_add_f64 v[170:171], v[156:157], v[170:171]
	v_add_f64 v[223:224], v[158:159], v[177:178]
	v_fma_f64 v[156:157], v[231:232], s[34:35], v[152:153]
	v_fma_f64 v[158:159], v[233:234], s[34:35], -v[154:155]
	v_fma_f64 v[177:178], v[231:232], s[18:19], -v[195:196]
	v_fma_f64 v[225:226], v[233:234], s[18:19], v[197:198]
	v_add_f64 v[152:153], v[160:161], v[193:194]
	v_add_f64 v[154:155], v[162:163], v[203:204]
	v_mul_f64 v[193:194], v[227:228], s[24:25]
	v_mul_f64 v[203:204], v[229:230], s[24:25]
	v_add_f64 v[156:157], v[156:157], v[164:165]
	v_add_f64 v[158:159], v[158:159], v[166:167]
	;; [unrolled: 1-line block ×4, first 2 shown]
	v_fma_f64 v[164:165], v[231:232], s[18:19], v[195:196]
	v_fma_f64 v[166:167], v[233:234], s[18:19], -v[197:198]
	v_fma_f64 v[177:178], v[231:232], s[26:27], -v[193:194]
	v_fma_f64 v[187:188], v[233:234], s[26:27], v[203:204]
	v_mul_f64 v[195:196], v[227:228], s[42:43]
	v_mul_f64 v[197:198], v[229:230], s[42:43]
	v_fma_f64 v[193:194], v[231:232], s[26:27], v[193:194]
	v_fma_f64 v[203:204], v[233:234], s[26:27], -v[203:204]
	v_add_f64 v[164:165], v[164:165], v[179:180]
	v_add_f64 v[166:167], v[166:167], v[181:182]
	;; [unrolled: 1-line block ×4, first 2 shown]
	v_fma_f64 v[185:186], v[231:232], s[14:15], -v[195:196]
	v_fma_f64 v[187:188], v[233:234], s[14:15], v[197:198]
	v_add_f64 v[181:182], v[193:194], v[189:190]
	v_fma_f64 v[189:190], v[231:232], s[14:15], v[195:196]
	v_fma_f64 v[193:194], v[233:234], s[14:15], -v[197:198]
	v_mul_f64 v[195:196], v[227:228], s[16:17]
	v_mul_f64 v[197:198], v[229:230], s[16:17]
	v_add_f64 v[183:184], v[203:204], v[205:206]
	v_mul_f64 v[203:204], v[227:228], s[28:29]
	v_mul_f64 v[205:206], v[229:230], s[28:29]
	v_add_f64 v[185:186], v[185:186], v[207:208]
	v_add_f64 v[189:190], v[189:190], v[191:192]
	;; [unrolled: 1-line block ×3, first 2 shown]
	v_fma_f64 v[193:194], v[231:232], s[20:21], -v[195:196]
	v_fma_f64 v[207:208], v[233:234], s[20:21], v[197:198]
	v_add_f64 v[187:188], v[187:188], v[209:210]
	v_fma_f64 v[215:216], v[231:232], s[8:9], -v[203:204]
	v_fma_f64 v[225:226], v[233:234], s[8:9], v[205:206]
	v_fma_f64 v[227:228], v[231:232], s[8:9], v[203:204]
	v_fma_f64 v[229:230], v[233:234], s[8:9], -v[205:206]
	v_fma_f64 v[209:210], v[231:232], s[20:21], v[195:196]
	v_fma_f64 v[213:214], v[233:234], s[20:21], -v[197:198]
	v_add_f64 v[193:194], v[193:194], v[211:212]
	v_add_f64 v[195:196], v[207:208], v[217:218]
	;; [unrolled: 1-line block ×8, first 2 shown]
	ds_write_b128 v173, v[148:151]
	ds_write_b128 v173, v[152:155] offset:2704
	ds_write_b128 v173, v[160:163] offset:5408
	;; [unrolled: 1-line block ×12, first 2 shown]
	v_add_co_u32_e32 v148, vcc, s11, v168
	v_addc_co_u32_e32 v149, vcc, 0, v169, vcc
	s_waitcnt lgkmcnt(0)
	s_barrier
	global_load_dwordx4 v[148:151], v[148:149], off offset:2384
	v_add_co_u32_e32 v152, vcc, s10, v168
	v_addc_co_u32_e32 v153, vcc, 0, v169, vcc
	global_load_dwordx4 v[152:155], v[152:153], off offset:2704
	s_mov_b32 s10, 0x9000
	v_add_co_u32_e32 v156, vcc, s10, v168
	v_addc_co_u32_e32 v157, vcc, 0, v169, vcc
	s_mov_b32 s10, 0xa000
	v_add_co_u32_e32 v160, vcc, s10, v168
	v_addc_co_u32_e32 v161, vcc, 0, v169, vcc
	global_load_dwordx4 v[156:159], v[156:157], off offset:3696
	s_nop 0
	global_load_dwordx4 v[160:163], v[160:161], off offset:2304
	s_mov_b32 s10, 0xb000
	v_add_co_u32_e32 v170, vcc, s10, v168
	v_addc_co_u32_e32 v171, vcc, 0, v169, vcc
	global_load_dwordx4 v[164:167], v[170:171], off offset:912
	global_load_dwordx4 v[177:180], v[170:171], off offset:3616
	s_mov_b32 s10, 0xc000
	v_add_co_u32_e32 v170, vcc, s10, v168
	v_addc_co_u32_e32 v171, vcc, 0, v169, vcc
	s_mov_b32 s10, 0xd000
	global_load_dwordx4 v[181:184], v[170:171], off offset:2224
	v_add_co_u32_e32 v170, vcc, s10, v168
	v_addc_co_u32_e32 v171, vcc, 0, v169, vcc
	global_load_dwordx4 v[185:188], v[170:171], off offset:832
	global_load_dwordx4 v[189:192], v[170:171], off offset:3536
	s_mov_b32 s10, 0xe000
	v_add_co_u32_e32 v170, vcc, s10, v168
	v_addc_co_u32_e32 v171, vcc, 0, v169, vcc
	s_mov_b32 s10, 0xf000
	global_load_dwordx4 v[193:196], v[170:171], off offset:2144
	v_add_co_u32_e32 v170, vcc, s10, v168
	v_addc_co_u32_e32 v171, vcc, 0, v169, vcc
	s_mov_b32 s10, 0x10000
	v_add_co_u32_e32 v168, vcc, s10, v168
	global_load_dwordx4 v[197:200], v[170:171], off offset:752
	global_load_dwordx4 v[201:204], v[170:171], off offset:3456
	v_addc_co_u32_e32 v169, vcc, 0, v169, vcc
	global_load_dwordx4 v[168:171], v[168:169], off offset:2064
	ds_read_b128 v[205:208], v173
	ds_read_b128 v[209:212], v173 offset:2704
	ds_read_b128 v[217:220], v173 offset:10816
	s_waitcnt vmcnt(12) lgkmcnt(2)
	v_mul_f64 v[213:214], v[207:208], v[150:151]
	v_mul_f64 v[150:151], v[205:206], v[150:151]
	s_waitcnt vmcnt(11) lgkmcnt(1)
	v_mul_f64 v[221:222], v[211:212], v[154:155]
	v_mul_f64 v[154:155], v[209:210], v[154:155]
	v_fma_f64 v[205:206], v[205:206], v[148:149], -v[213:214]
	ds_read_b128 v[213:216], v173 offset:5408
	v_fma_f64 v[207:208], v[207:208], v[148:149], v[150:151]
	ds_read_b128 v[148:151], v173 offset:8112
	v_fma_f64 v[209:210], v[209:210], v[152:153], -v[221:222]
	v_fma_f64 v[211:212], v[211:212], v[152:153], v[154:155]
	s_waitcnt vmcnt(10) lgkmcnt(1)
	v_mul_f64 v[223:224], v[215:216], v[158:159]
	s_waitcnt vmcnt(9) lgkmcnt(0)
	v_mul_f64 v[225:226], v[150:151], v[162:163]
	v_mul_f64 v[162:163], v[148:149], v[162:163]
	;; [unrolled: 1-line block ×3, first 2 shown]
	v_fma_f64 v[152:153], v[213:214], v[156:157], -v[223:224]
	v_fma_f64 v[148:149], v[148:149], v[160:161], -v[225:226]
	v_fma_f64 v[150:151], v[150:151], v[160:161], v[162:163]
	ds_read_b128 v[160:163], v173 offset:13520
	s_waitcnt vmcnt(8)
	v_mul_f64 v[227:228], v[219:220], v[166:167]
	v_mul_f64 v[166:167], v[217:218], v[166:167]
	v_fma_f64 v[154:155], v[215:216], v[156:157], v[158:159]
	ds_write_b128 v173, v[205:208]
	ds_write_b128 v173, v[209:212] offset:2704
	ds_write_b128 v173, v[152:155] offset:5408
	;; [unrolled: 1-line block ×3, first 2 shown]
	v_fma_f64 v[156:157], v[217:218], v[164:165], -v[227:228]
	v_fma_f64 v[158:159], v[219:220], v[164:165], v[166:167]
	ds_read_b128 v[148:151], v173 offset:16224
	ds_read_b128 v[152:155], v173 offset:18928
	s_waitcnt vmcnt(7) lgkmcnt(6)
	v_mul_f64 v[205:206], v[162:163], v[179:180]
	v_mul_f64 v[179:180], v[160:161], v[179:180]
	ds_read_b128 v[164:167], v173 offset:24336
	s_waitcnt vmcnt(6) lgkmcnt(2)
	v_mul_f64 v[207:208], v[150:151], v[183:184]
	v_mul_f64 v[183:184], v[148:149], v[183:184]
	ds_write_b128 v173, v[156:159] offset:10816
	ds_read_b128 v[156:159], v173 offset:21632
	s_waitcnt vmcnt(5) lgkmcnt(3)
	v_mul_f64 v[209:210], v[154:155], v[187:188]
	v_mul_f64 v[187:188], v[152:153], v[187:188]
	v_fma_f64 v[160:161], v[160:161], v[177:178], -v[205:206]
	v_fma_f64 v[162:163], v[162:163], v[177:178], v[179:180]
	s_waitcnt vmcnt(4) lgkmcnt(0)
	v_mul_f64 v[211:212], v[158:159], v[191:192]
	v_mul_f64 v[191:192], v[156:157], v[191:192]
	ds_read_b128 v[177:180], v173 offset:27040
	v_fma_f64 v[148:149], v[148:149], v[181:182], -v[207:208]
	v_fma_f64 v[150:151], v[150:151], v[181:182], v[183:184]
	ds_read_b128 v[181:184], v173 offset:29744
	v_fma_f64 v[152:153], v[152:153], v[185:186], -v[209:210]
	v_fma_f64 v[154:155], v[154:155], v[185:186], v[187:188]
	;; [unrolled: 3-line block ×3, first 2 shown]
	s_waitcnt vmcnt(3)
	v_mul_f64 v[189:190], v[166:167], v[195:196]
	v_mul_f64 v[191:192], v[164:165], v[195:196]
	s_waitcnt vmcnt(2) lgkmcnt(2)
	v_mul_f64 v[195:196], v[179:180], v[199:200]
	v_mul_f64 v[199:200], v[177:178], v[199:200]
	s_waitcnt vmcnt(1) lgkmcnt(1)
	;; [unrolled: 3-line block ×3, first 2 shown]
	v_mul_f64 v[207:208], v[187:188], v[170:171]
	v_mul_f64 v[170:171], v[185:186], v[170:171]
	v_fma_f64 v[164:165], v[164:165], v[193:194], -v[189:190]
	v_fma_f64 v[166:167], v[166:167], v[193:194], v[191:192]
	v_fma_f64 v[177:178], v[177:178], v[197:198], -v[195:196]
	v_fma_f64 v[179:180], v[179:180], v[197:198], v[199:200]
	;; [unrolled: 2-line block ×4, first 2 shown]
	ds_write_b128 v173, v[160:163] offset:13520
	ds_write_b128 v173, v[148:151] offset:16224
	;; [unrolled: 1-line block ×8, first 2 shown]
	s_waitcnt lgkmcnt(0)
	s_barrier
	ds_read_b128 v[168:171], v173
	ds_read_b128 v[148:151], v173 offset:2704
	ds_read_b128 v[177:180], v173 offset:5408
	;; [unrolled: 1-line block ×5, first 2 shown]
	s_waitcnt lgkmcnt(4)
	v_add_f64 v[152:153], v[168:169], v[148:149]
	v_add_f64 v[154:155], v[170:171], v[150:151]
	s_waitcnt lgkmcnt(3)
	v_add_f64 v[152:153], v[152:153], v[177:178]
	v_add_f64 v[154:155], v[154:155], v[179:180]
	;; [unrolled: 3-line block ×5, first 2 shown]
	ds_read_b128 v[152:155], v173 offset:16224
	s_waitcnt lgkmcnt(0)
	v_add_f64 v[164:165], v[156:157], v[152:153]
	v_add_f64 v[166:167], v[158:159], v[154:155]
	ds_read_b128 v[156:159], v173 offset:18928
	s_waitcnt lgkmcnt(0)
	v_add_f64 v[189:190], v[164:165], v[156:157]
	v_add_f64 v[191:192], v[166:167], v[158:159]
	;; [unrolled: 4-line block ×3, first 2 shown]
	ds_read_b128 v[189:192], v173 offset:24336
	ds_read_b128 v[193:196], v173 offset:32448
	;; [unrolled: 1-line block ×3, first 2 shown]
	s_waitcnt lgkmcnt(1)
	v_add_f64 v[209:210], v[150:151], -v[195:196]
	v_add_f64 v[205:206], v[197:198], v[189:190]
	v_add_f64 v[207:208], v[199:200], v[191:192]
	ds_read_b128 v[197:200], v173 offset:27040
	v_add_f64 v[211:212], v[150:151], v[195:196]
	v_add_f64 v[215:216], v[148:149], -v[193:194]
	s_waitcnt lgkmcnt(1)
	v_add_f64 v[237:238], v[177:178], v[201:202]
	v_add_f64 v[239:240], v[179:180], v[203:204]
	v_mul_f64 v[213:214], v[209:210], s[22:23]
	s_waitcnt lgkmcnt(0)
	v_add_f64 v[150:151], v[205:206], v[197:198]
	v_add_f64 v[205:206], v[207:208], v[199:200]
	;; [unrolled: 1-line block ×3, first 2 shown]
	v_mul_f64 v[217:218], v[211:212], s[18:19]
	v_mul_f64 v[219:220], v[209:210], s[12:13]
	;; [unrolled: 1-line block ×5, first 2 shown]
	v_add_f64 v[148:149], v[150:151], v[201:202]
	v_add_f64 v[150:151], v[205:206], v[203:204]
	v_fma_f64 v[205:206], v[207:208], s[18:19], v[213:214]
	v_fma_f64 v[223:224], v[215:216], s[40:41], v[217:218]
	v_fma_f64 v[213:214], v[207:208], s[18:19], -v[213:214]
	v_mul_f64 v[227:228], v[211:212], s[8:9]
	v_mul_f64 v[229:230], v[211:212], s[20:21]
	v_fma_f64 v[233:234], v[207:208], s[20:21], v[225:226]
	v_add_f64 v[148:149], v[148:149], v[193:194]
	v_mul_f64 v[193:194], v[209:210], s[6:7]
	v_mul_f64 v[209:210], v[209:210], s[30:31]
	v_add_f64 v[150:151], v[150:151], v[195:196]
	v_fma_f64 v[195:196], v[207:208], s[14:15], v[219:220]
	v_fma_f64 v[219:220], v[207:208], s[14:15], -v[219:220]
	v_fma_f64 v[225:226], v[207:208], s[20:21], -v[225:226]
	v_add_f64 v[177:178], v[177:178], -v[201:202]
	v_add_f64 v[179:180], v[179:180], -v[203:204]
	v_fma_f64 v[231:232], v[207:208], s[8:9], v[193:194]
	v_fma_f64 v[193:194], v[207:208], s[8:9], -v[193:194]
	v_add_f64 v[201:202], v[183:184], -v[199:200]
	v_add_f64 v[183:184], v[183:184], v[199:200]
	v_add_f64 v[199:200], v[181:182], v[197:198]
	v_add_f64 v[181:182], v[181:182], -v[197:198]
	v_add_f64 v[197:198], v[187:188], -v[191:192]
	v_add_f64 v[187:188], v[187:188], v[191:192]
	v_add_f64 v[191:192], v[185:186], v[189:190]
	v_add_f64 v[185:186], v[185:186], -v[189:190]
	v_mul_f64 v[189:190], v[211:212], s[26:27]
	v_fma_f64 v[203:204], v[207:208], s[26:27], v[235:236]
	v_fma_f64 v[235:236], v[207:208], s[26:27], -v[235:236]
	v_fma_f64 v[241:242], v[207:208], s[34:35], v[209:210]
	v_fma_f64 v[207:208], v[207:208], s[34:35], -v[209:210]
	v_mul_f64 v[211:212], v[211:212], s[34:35]
	v_fma_f64 v[217:218], v[215:216], s[22:23], v[217:218]
	v_fma_f64 v[209:210], v[215:216], s[42:43], v[221:222]
	;; [unrolled: 1-line block ×11, first 2 shown]
	v_add_f64 v[205:206], v[168:169], v[205:206]
	v_add_f64 v[215:216], v[170:171], v[223:224]
	;; [unrolled: 1-line block ×13, first 2 shown]
	v_mul_f64 v[207:208], v[179:180], s[12:13]
	v_add_f64 v[217:218], v[170:171], v[217:218]
	v_add_f64 v[209:210], v[170:171], v[209:210]
	;; [unrolled: 1-line block ×11, first 2 shown]
	v_fma_f64 v[211:212], v[237:238], s[14:15], v[207:208]
	v_fma_f64 v[207:208], v[237:238], s[14:15], -v[207:208]
	s_barrier
	v_add_f64 v[205:206], v[211:212], v[205:206]
	v_mul_f64 v[211:212], v[239:240], s[14:15]
	v_add_f64 v[207:208], v[207:208], v[213:214]
	v_mul_f64 v[213:214], v[179:180], s[16:17]
	v_fma_f64 v[249:250], v[177:178], s[42:43], v[211:212]
	v_fma_f64 v[211:212], v[177:178], s[12:13], v[211:212]
	v_add_f64 v[215:216], v[249:250], v[215:216]
	v_add_f64 v[211:212], v[211:212], v[217:218]
	v_fma_f64 v[217:218], v[237:238], s[20:21], v[213:214]
	v_fma_f64 v[213:214], v[237:238], s[20:21], -v[213:214]
	v_add_f64 v[195:196], v[217:218], v[195:196]
	v_mul_f64 v[217:218], v[239:240], s[20:21]
	v_add_f64 v[213:214], v[213:214], v[219:220]
	v_mul_f64 v[219:220], v[179:180], s[30:31]
	v_fma_f64 v[249:250], v[177:178], s[38:39], v[217:218]
	v_fma_f64 v[217:218], v[177:178], s[16:17], v[217:218]
	v_add_f64 v[209:210], v[249:250], v[209:210]
	v_add_f64 v[217:218], v[217:218], v[221:222]
	v_fma_f64 v[221:222], v[237:238], s[34:35], v[219:220]
	v_fma_f64 v[219:220], v[237:238], s[34:35], -v[219:220]
	v_add_f64 v[221:222], v[221:222], v[223:224]
	v_mul_f64 v[223:224], v[239:240], s[34:35]
	v_add_f64 v[193:194], v[219:220], v[193:194]
	v_fma_f64 v[249:250], v[177:178], s[44:45], v[223:224]
	v_fma_f64 v[219:220], v[177:178], s[30:31], v[223:224]
	v_mul_f64 v[223:224], v[179:180], s[36:37]
	v_add_f64 v[231:232], v[249:250], v[231:232]
	v_add_f64 v[219:220], v[219:220], v[227:228]
	v_fma_f64 v[227:228], v[237:238], s[26:27], v[223:224]
	v_fma_f64 v[223:224], v[237:238], s[26:27], -v[223:224]
	v_add_f64 v[227:228], v[227:228], v[233:234]
	v_mul_f64 v[233:234], v[239:240], s[26:27]
	v_add_f64 v[223:224], v[223:224], v[225:226]
	v_fma_f64 v[225:226], v[177:178], s[36:37], v[233:234]
	v_fma_f64 v[249:250], v[177:178], s[24:25], v[233:234]
	v_add_f64 v[225:226], v[225:226], v[229:230]
	v_mul_f64 v[229:230], v[179:180], s[28:29]
	v_add_f64 v[243:244], v[249:250], v[243:244]
	v_mul_f64 v[179:180], v[179:180], s[40:41]
	v_fma_f64 v[233:234], v[237:238], s[8:9], v[229:230]
	v_fma_f64 v[229:230], v[237:238], s[8:9], -v[229:230]
	v_add_f64 v[203:204], v[233:234], v[203:204]
	v_mul_f64 v[233:234], v[239:240], s[8:9]
	v_add_f64 v[229:230], v[229:230], v[235:236]
	v_mul_f64 v[235:236], v[239:240], s[18:19]
	v_mul_f64 v[239:240], v[201:202], s[12:13]
	v_fma_f64 v[249:250], v[177:178], s[6:7], v[233:234]
	v_fma_f64 v[233:234], v[177:178], s[28:29], v[233:234]
	v_add_f64 v[245:246], v[249:250], v[245:246]
	v_add_f64 v[189:190], v[233:234], v[189:190]
	v_fma_f64 v[233:234], v[237:238], s[18:19], v[179:180]
	v_fma_f64 v[179:180], v[237:238], s[18:19], -v[179:180]
	v_fma_f64 v[237:238], v[177:178], s[22:23], v[235:236]
	v_fma_f64 v[177:178], v[177:178], s[40:41], v[235:236]
	v_mul_f64 v[235:236], v[201:202], s[6:7]
	v_add_f64 v[233:234], v[233:234], v[241:242]
	v_add_f64 v[168:169], v[179:180], v[168:169]
	;; [unrolled: 1-line block ×4, first 2 shown]
	v_fma_f64 v[179:180], v[199:200], s[8:9], v[235:236]
	v_mul_f64 v[177:178], v[183:184], s[8:9]
	v_fma_f64 v[235:236], v[199:200], s[8:9], -v[235:236]
	v_add_f64 v[179:180], v[179:180], v[205:206]
	v_fma_f64 v[205:206], v[181:182], s[28:29], v[177:178]
	v_fma_f64 v[177:178], v[181:182], s[6:7], v[177:178]
	v_add_f64 v[207:208], v[235:236], v[207:208]
	v_add_f64 v[205:206], v[205:206], v[215:216]
	v_mul_f64 v[215:216], v[201:202], s[30:31]
	v_add_f64 v[177:178], v[177:178], v[211:212]
	v_mul_f64 v[211:212], v[183:184], s[34:35]
	v_fma_f64 v[235:236], v[199:200], s[34:35], v[215:216]
	v_fma_f64 v[215:216], v[199:200], s[34:35], -v[215:216]
	v_add_f64 v[195:196], v[235:236], v[195:196]
	v_fma_f64 v[235:236], v[181:182], s[44:45], v[211:212]
	v_fma_f64 v[211:212], v[181:182], s[30:31], v[211:212]
	v_add_f64 v[213:214], v[215:216], v[213:214]
	v_add_f64 v[209:210], v[235:236], v[209:210]
	v_mul_f64 v[235:236], v[201:202], s[38:39]
	v_add_f64 v[211:212], v[211:212], v[217:218]
	v_mul_f64 v[217:218], v[183:184], s[20:21]
	v_fma_f64 v[215:216], v[199:200], s[20:21], v[235:236]
	v_fma_f64 v[235:236], v[199:200], s[20:21], -v[235:236]
	v_add_f64 v[215:216], v[215:216], v[221:222]
	v_fma_f64 v[221:222], v[181:182], s[16:17], v[217:218]
	v_fma_f64 v[217:218], v[181:182], s[38:39], v[217:218]
	v_add_f64 v[193:194], v[235:236], v[193:194]
	v_add_f64 v[221:222], v[221:222], v[231:232]
	v_mul_f64 v[231:232], v[201:202], s[40:41]
	v_add_f64 v[217:218], v[217:218], v[219:220]
	v_mul_f64 v[219:220], v[183:184], s[18:19]
	v_mul_f64 v[201:202], v[201:202], s[24:25]
	v_fma_f64 v[235:236], v[199:200], s[18:19], v[231:232]
	v_fma_f64 v[231:232], v[199:200], s[18:19], -v[231:232]
	v_fma_f64 v[241:242], v[199:200], s[26:27], v[201:202]
	v_add_f64 v[227:228], v[235:236], v[227:228]
	v_fma_f64 v[235:236], v[181:182], s[22:23], v[219:220]
	v_fma_f64 v[219:220], v[181:182], s[40:41], v[219:220]
	v_add_f64 v[223:224], v[231:232], v[223:224]
	v_fma_f64 v[231:232], v[199:200], s[14:15], v[239:240]
	v_fma_f64 v[239:240], v[199:200], s[14:15], -v[239:240]
	v_fma_f64 v[199:200], v[199:200], s[26:27], -v[201:202]
	v_add_f64 v[233:234], v[241:242], v[233:234]
	v_add_f64 v[235:236], v[235:236], v[243:244]
	;; [unrolled: 1-line block ×3, first 2 shown]
	v_mul_f64 v[225:226], v[183:184], s[14:15]
	v_mul_f64 v[183:184], v[183:184], s[26:27]
	v_add_f64 v[203:204], v[231:232], v[203:204]
	v_add_f64 v[229:230], v[239:240], v[229:230]
	v_mul_f64 v[239:240], v[187:188], s[20:21]
	v_add_f64 v[168:169], v[199:200], v[168:169]
	v_mul_f64 v[199:200], v[187:188], s[26:27]
	v_fma_f64 v[231:232], v[181:182], s[42:43], v[225:226]
	v_fma_f64 v[225:226], v[181:182], s[12:13], v[225:226]
	;; [unrolled: 1-line block ×4, first 2 shown]
	v_mul_f64 v[183:184], v[197:198], s[16:17]
	v_fma_f64 v[241:242], v[185:186], s[38:39], v[239:240]
	v_add_f64 v[231:232], v[231:232], v[245:246]
	v_add_f64 v[189:190], v[225:226], v[189:190]
	;; [unrolled: 1-line block ×4, first 2 shown]
	v_fma_f64 v[225:226], v[191:192], s[20:21], v[183:184]
	v_mul_f64 v[181:182], v[197:198], s[36:37]
	v_fma_f64 v[183:184], v[191:192], s[20:21], -v[183:184]
	v_add_f64 v[205:206], v[241:242], v[205:206]
	v_mul_f64 v[237:238], v[197:198], s[40:41]
	v_add_f64 v[179:180], v[225:226], v[179:180]
	v_fma_f64 v[225:226], v[185:186], s[16:17], v[239:240]
	v_mul_f64 v[239:240], v[187:188], s[18:19]
	v_fma_f64 v[241:242], v[191:192], s[26:27], v[181:182]
	v_add_f64 v[183:184], v[183:184], v[207:208]
	v_fma_f64 v[207:208], v[185:186], s[24:25], v[199:200]
	v_fma_f64 v[181:182], v[191:192], s[26:27], -v[181:182]
	v_fma_f64 v[199:200], v[185:186], s[36:37], v[199:200]
	v_add_f64 v[177:178], v[225:226], v[177:178]
	v_fma_f64 v[225:226], v[191:192], s[18:19], v[237:238]
	v_add_f64 v[195:196], v[241:242], v[195:196]
	;; [unrolled: 2-line block ×3, first 2 shown]
	v_mul_f64 v[209:210], v[197:198], s[6:7]
	v_add_f64 v[181:182], v[181:182], v[213:214]
	v_add_f64 v[199:200], v[199:200], v[211:212]
	v_fma_f64 v[211:212], v[191:192], s[18:19], -v[237:238]
	v_mul_f64 v[213:214], v[187:188], s[8:9]
	v_add_f64 v[215:216], v[225:226], v[215:216]
	v_add_f64 v[221:222], v[241:242], v[221:222]
	v_fma_f64 v[225:226], v[185:186], s[40:41], v[239:240]
	v_mul_f64 v[237:238], v[197:198], s[44:45]
	v_fma_f64 v[239:240], v[191:192], s[8:9], v[209:210]
	v_mul_f64 v[241:242], v[187:188], s[34:35]
	v_fma_f64 v[209:210], v[191:192], s[8:9], -v[209:210]
	v_add_f64 v[193:194], v[211:212], v[193:194]
	v_fma_f64 v[211:212], v[185:186], s[28:29], v[213:214]
	v_fma_f64 v[213:214], v[185:186], s[6:7], v[213:214]
	v_add_f64 v[217:218], v[225:226], v[217:218]
	v_fma_f64 v[225:226], v[191:192], s[34:35], v[237:238]
	v_add_f64 v[227:228], v[239:240], v[227:228]
	;; [unrolled: 2-line block ×3, first 2 shown]
	v_mul_f64 v[187:188], v[187:188], s[14:15]
	v_add_f64 v[223:224], v[162:163], -v[166:167]
	v_add_f64 v[162:163], v[162:163], v[166:167]
	v_add_f64 v[211:212], v[211:212], v[235:236]
	;; [unrolled: 1-line block ×3, first 2 shown]
	v_mul_f64 v[197:198], v[197:198], s[42:43]
	v_add_f64 v[203:204], v[225:226], v[203:204]
	v_add_f64 v[219:220], v[239:240], v[231:232]
	v_fma_f64 v[166:167], v[191:192], s[34:35], -v[237:238]
	v_fma_f64 v[225:226], v[185:186], s[44:45], v[241:242]
	v_fma_f64 v[235:236], v[185:186], s[12:13], v[187:188]
	v_add_f64 v[237:238], v[160:161], v[164:165]
	v_add_f64 v[160:161], v[160:161], -v[164:165]
	v_mul_f64 v[164:165], v[223:224], s[24:25]
	v_mul_f64 v[239:240], v[162:163], s[26:27]
	v_fma_f64 v[185:186], v[185:186], s[42:43], v[187:188]
	v_fma_f64 v[231:232], v[191:192], s[14:15], v[197:198]
	v_fma_f64 v[191:192], v[191:192], s[14:15], -v[197:198]
	v_add_f64 v[187:188], v[225:226], v[189:190]
	v_add_f64 v[197:198], v[235:236], v[201:202]
	;; [unrolled: 1-line block ×3, first 2 shown]
	v_fma_f64 v[201:202], v[237:238], s[26:27], v[164:165]
	v_fma_f64 v[225:226], v[160:161], s[36:37], v[239:240]
	v_add_f64 v[170:171], v[185:186], v[170:171]
	v_mul_f64 v[185:186], v[223:224], s[28:29]
	v_add_f64 v[189:190], v[231:232], v[233:234]
	v_add_f64 v[168:169], v[191:192], v[168:169]
	v_mul_f64 v[191:192], v[162:163], s[8:9]
	v_fma_f64 v[164:165], v[237:238], s[26:27], -v[164:165]
	v_fma_f64 v[229:230], v[160:161], s[24:25], v[239:240]
	v_add_f64 v[179:180], v[201:202], v[179:180]
	v_add_f64 v[201:202], v[225:226], v[205:206]
	v_mul_f64 v[205:206], v[223:224], s[12:13]
	v_mul_f64 v[225:226], v[162:163], s[14:15]
	v_fma_f64 v[231:232], v[237:238], s[8:9], v[185:186]
	v_fma_f64 v[233:234], v[160:161], s[6:7], v[191:192]
	v_add_f64 v[164:165], v[164:165], v[183:184]
	v_add_f64 v[177:178], v[229:230], v[177:178]
	v_fma_f64 v[183:184], v[237:238], s[8:9], -v[185:186]
	v_fma_f64 v[185:186], v[160:161], s[28:29], v[191:192]
	v_fma_f64 v[191:192], v[237:238], s[14:15], v[205:206]
	;; [unrolled: 1-line block ×3, first 2 shown]
	v_add_f64 v[195:196], v[231:232], v[195:196]
	v_mul_f64 v[231:232], v[223:224], s[44:45]
	v_add_f64 v[207:208], v[233:234], v[207:208]
	v_mul_f64 v[233:234], v[162:163], s[34:35]
	v_add_f64 v[181:182], v[183:184], v[181:182]
	v_add_f64 v[183:184], v[185:186], v[199:200]
	;; [unrolled: 1-line block ×4, first 2 shown]
	v_fma_f64 v[199:200], v[237:238], s[14:15], -v[205:206]
	v_fma_f64 v[205:206], v[160:161], s[12:13], v[225:226]
	v_fma_f64 v[215:216], v[237:238], s[34:35], v[231:232]
	v_mul_f64 v[225:226], v[223:224], s[40:41]
	v_mul_f64 v[229:230], v[162:163], s[18:19]
	v_fma_f64 v[221:222], v[160:161], s[30:31], v[233:234]
	v_mul_f64 v[223:224], v[223:224], s[16:17]
	v_mul_f64 v[162:163], v[162:163], s[20:21]
	v_add_f64 v[193:194], v[199:200], v[193:194]
	v_add_f64 v[199:200], v[205:206], v[217:218]
	v_add_f64 v[205:206], v[215:216], v[227:228]
	v_fma_f64 v[215:216], v[237:238], s[18:19], v[225:226]
	v_fma_f64 v[217:218], v[160:161], s[22:23], v[229:230]
	v_add_f64 v[211:212], v[221:222], v[211:212]
	v_fma_f64 v[221:222], v[237:238], s[18:19], -v[225:226]
	v_fma_f64 v[225:226], v[160:161], s[40:41], v[229:230]
	v_add_f64 v[227:228], v[152:153], v[156:157]
	v_add_f64 v[229:230], v[152:153], -v[156:157]
	v_fma_f64 v[231:232], v[237:238], s[34:35], -v[231:232]
	v_add_f64 v[203:204], v[215:216], v[203:204]
	v_add_f64 v[215:216], v[217:218], v[219:220]
	v_add_f64 v[217:218], v[154:155], -v[158:159]
	v_add_f64 v[219:220], v[154:155], v[158:159]
	v_fma_f64 v[154:155], v[237:238], s[20:21], v[223:224]
	v_fma_f64 v[233:234], v[160:161], s[44:45], v[233:234]
	v_add_f64 v[221:222], v[221:222], v[166:167]
	v_add_f64 v[225:226], v[225:226], v[187:188]
	v_fma_f64 v[158:159], v[160:161], s[38:39], v[162:163]
	v_fma_f64 v[166:167], v[237:238], s[20:21], -v[223:224]
	v_mul_f64 v[152:153], v[217:218], s[30:31]
	v_mul_f64 v[156:157], v[219:220], s[34:35]
	v_fma_f64 v[160:161], v[160:161], s[16:17], v[162:163]
	v_add_f64 v[223:224], v[154:155], v[189:190]
	v_mul_f64 v[187:188], v[217:218], s[40:41]
	v_mul_f64 v[189:190], v[219:220], s[18:19]
	v_add_f64 v[209:210], v[231:232], v[209:210]
	v_add_f64 v[213:214], v[233:234], v[213:214]
	v_fma_f64 v[154:155], v[227:228], s[34:35], v[152:153]
	v_add_f64 v[231:232], v[158:159], v[197:198]
	v_fma_f64 v[158:159], v[229:230], s[44:45], v[156:157]
	v_add_f64 v[233:234], v[166:167], v[168:169]
	v_add_f64 v[235:236], v[160:161], v[170:171]
	v_fma_f64 v[160:161], v[227:228], s[34:35], -v[152:153]
	v_fma_f64 v[162:163], v[229:230], s[30:31], v[156:157]
	v_fma_f64 v[166:167], v[227:228], s[18:19], v[187:188]
	v_fma_f64 v[168:169], v[229:230], s[22:23], v[189:190]
	v_add_f64 v[152:153], v[154:155], v[179:180]
	v_mul_f64 v[170:171], v[217:218], s[24:25]
	v_mul_f64 v[179:180], v[219:220], s[26:27]
	v_add_f64 v[154:155], v[158:159], v[201:202]
	v_add_f64 v[156:157], v[160:161], v[164:165]
	;; [unrolled: 1-line block ×5, first 2 shown]
	v_fma_f64 v[164:165], v[227:228], s[18:19], -v[187:188]
	v_fma_f64 v[166:167], v[229:230], s[40:41], v[189:190]
	v_fma_f64 v[168:169], v[227:228], s[26:27], v[170:171]
	;; [unrolled: 1-line block ×3, first 2 shown]
	v_mul_f64 v[187:188], v[217:218], s[42:43]
	v_mul_f64 v[189:190], v[219:220], s[14:15]
	v_fma_f64 v[195:196], v[227:228], s[26:27], -v[170:171]
	v_fma_f64 v[179:180], v[229:230], s[24:25], v[179:180]
	v_add_f64 v[164:165], v[164:165], v[181:182]
	v_add_f64 v[166:167], v[166:167], v[183:184]
	;; [unrolled: 1-line block ×4, first 2 shown]
	v_fma_f64 v[181:182], v[227:228], s[14:15], v[187:188]
	v_fma_f64 v[183:184], v[229:230], s[12:13], v[189:190]
	v_fma_f64 v[185:186], v[227:228], s[14:15], -v[187:188]
	v_fma_f64 v[187:188], v[229:230], s[42:43], v[189:190]
	v_mul_f64 v[189:190], v[217:218], s[16:17]
	v_mul_f64 v[191:192], v[219:220], s[20:21]
	v_add_f64 v[177:178], v[195:196], v[193:194]
	v_mul_f64 v[193:194], v[217:218], s[28:29]
	v_mul_f64 v[195:196], v[219:220], s[8:9]
	v_add_f64 v[179:180], v[179:180], v[199:200]
	v_add_f64 v[185:186], v[185:186], v[209:210]
	;; [unrolled: 1-line block ×3, first 2 shown]
	v_fma_f64 v[197:198], v[227:228], s[20:21], v[189:190]
	v_fma_f64 v[199:200], v[229:230], s[38:39], v[191:192]
	v_add_f64 v[187:188], v[187:188], v[213:214]
	v_fma_f64 v[207:208], v[227:228], s[8:9], v[193:194]
	v_fma_f64 v[209:210], v[229:230], s[6:7], v[195:196]
	v_fma_f64 v[201:202], v[227:228], s[20:21], -v[189:190]
	v_fma_f64 v[211:212], v[227:228], s[8:9], -v[193:194]
	v_fma_f64 v[213:214], v[229:230], s[28:29], v[195:196]
	v_add_f64 v[181:182], v[181:182], v[205:206]
	v_fma_f64 v[205:206], v[229:230], s[16:17], v[191:192]
	v_add_f64 v[189:190], v[197:198], v[203:204]
	v_add_f64 v[191:192], v[199:200], v[215:216]
	;; [unrolled: 1-line block ×8, first 2 shown]
	ds_write_b128 v175, v[148:151]
	ds_write_b128 v175, v[152:155] offset:16
	ds_write_b128 v175, v[160:163] offset:32
	;; [unrolled: 1-line block ×12, first 2 shown]
	s_waitcnt lgkmcnt(0)
	s_barrier
	ds_read_b128 v[148:151], v173 offset:2704
	ds_read_b128 v[152:155], v173 offset:5408
	;; [unrolled: 1-line block ×3, first 2 shown]
	s_waitcnt lgkmcnt(2)
	v_mul_f64 v[160:161], v[86:87], v[150:151]
	v_mul_f64 v[86:87], v[86:87], v[148:149]
	s_waitcnt lgkmcnt(1)
	v_mul_f64 v[162:163], v[82:83], v[154:155]
	v_mul_f64 v[164:165], v[82:83], v[152:153]
	v_fma_f64 v[160:161], v[84:85], v[148:149], v[160:161]
	v_fma_f64 v[86:87], v[84:85], v[150:151], -v[86:87]
	ds_read_b128 v[82:85], v173
	v_fma_f64 v[162:163], v[80:81], v[152:153], v[162:163]
	v_fma_f64 v[80:81], v[80:81], v[154:155], -v[164:165]
	s_waitcnt lgkmcnt(1)
	v_mul_f64 v[164:165], v[58:59], v[158:159]
	v_mul_f64 v[58:59], v[58:59], v[156:157]
	ds_read_b128 v[148:151], v173 offset:10816
	ds_read_b128 v[152:155], v173 offset:13520
	s_waitcnt lgkmcnt(2)
	v_add_f64 v[166:167], v[82:83], v[160:161]
	v_add_f64 v[168:169], v[84:85], v[86:87]
	s_waitcnt lgkmcnt(1)
	v_mul_f64 v[170:171], v[54:55], v[150:151]
	v_mul_f64 v[54:55], v[54:55], v[148:149]
	v_fma_f64 v[156:157], v[56:57], v[156:157], v[164:165]
	v_fma_f64 v[158:159], v[56:57], v[158:159], -v[58:59]
	v_add_f64 v[56:57], v[166:167], v[162:163]
	v_add_f64 v[58:59], v[168:169], v[80:81]
	s_waitcnt lgkmcnt(0)
	v_mul_f64 v[168:169], v[74:75], v[154:155]
	v_fma_f64 v[164:165], v[52:53], v[148:149], v[170:171]
	v_fma_f64 v[166:167], v[52:53], v[150:151], -v[54:55]
	v_mul_f64 v[74:75], v[74:75], v[152:153]
	ds_read_b128 v[52:55], v173 offset:16224
	ds_read_b128 v[148:151], v173 offset:18928
	v_add_f64 v[56:57], v[56:57], v[156:157]
	v_add_f64 v[58:59], v[58:59], v[158:159]
	s_waitcnt lgkmcnt(1)
	v_mul_f64 v[170:171], v[70:71], v[54:55]
	v_mul_f64 v[177:178], v[70:71], v[52:53]
	v_fma_f64 v[70:71], v[72:73], v[152:153], v[168:169]
	v_fma_f64 v[152:153], v[72:73], v[154:155], -v[74:75]
	s_waitcnt lgkmcnt(0)
	v_mul_f64 v[154:155], v[66:67], v[150:151]
	v_add_f64 v[72:73], v[56:57], v[164:165]
	v_add_f64 v[74:75], v[58:59], v[166:167]
	v_mul_f64 v[168:169], v[66:67], v[148:149]
	v_fma_f64 v[56:57], v[68:69], v[52:53], v[170:171]
	v_fma_f64 v[58:59], v[68:69], v[54:55], -v[177:178]
	ds_read_b128 v[52:55], v173 offset:21632
	ds_read_b128 v[66:69], v173 offset:24336
	v_add_f64 v[72:73], v[72:73], v[70:71]
	v_add_f64 v[74:75], v[74:75], v[152:153]
	s_waitcnt lgkmcnt(1)
	v_mul_f64 v[170:171], v[62:63], v[54:55]
	v_mul_f64 v[177:178], v[62:63], v[52:53]
	v_fma_f64 v[62:63], v[64:65], v[148:149], v[154:155]
	v_fma_f64 v[64:65], v[64:65], v[150:151], -v[168:169]
	s_waitcnt lgkmcnt(0)
	v_mul_f64 v[168:169], v[98:99], v[68:69]
	v_mul_f64 v[98:99], v[98:99], v[66:67]
	v_add_f64 v[148:149], v[72:73], v[56:57]
	v_add_f64 v[150:151], v[74:75], v[58:59]
	v_fma_f64 v[154:155], v[60:61], v[52:53], v[170:171]
	v_fma_f64 v[60:61], v[60:61], v[54:55], -v[177:178]
	ds_read_b128 v[52:55], v173 offset:27040
	ds_read_b128 v[72:75], v173 offset:32448
	v_fma_f64 v[66:67], v[96:97], v[66:67], v[168:169]
	v_fma_f64 v[68:69], v[96:97], v[68:69], -v[98:99]
	v_add_f64 v[170:171], v[148:149], v[62:63]
	v_add_f64 v[177:178], v[150:151], v[64:65]
	ds_read_b128 v[148:151], v173 offset:29744
	s_waitcnt lgkmcnt(2)
	v_mul_f64 v[179:180], v[94:95], v[54:55]
	v_mul_f64 v[94:95], v[94:95], v[52:53]
	s_waitcnt lgkmcnt(1)
	v_mul_f64 v[181:182], v[90:91], v[72:73]
	v_mul_f64 v[90:91], v[90:91], v[74:75]
	s_waitcnt lgkmcnt(0)
	v_add_f64 v[96:97], v[170:171], v[154:155]
	v_add_f64 v[98:99], v[177:178], v[60:61]
	s_barrier
	v_fma_f64 v[168:169], v[92:93], v[52:53], v[179:180]
	v_fma_f64 v[92:93], v[92:93], v[54:55], -v[94:95]
	v_mul_f64 v[52:53], v[78:79], v[150:151]
	v_mul_f64 v[54:55], v[78:79], v[148:149]
	v_fma_f64 v[74:75], v[88:89], v[74:75], -v[181:182]
	v_add_f64 v[78:79], v[96:97], v[66:67]
	v_add_f64 v[94:95], v[98:99], v[68:69]
	v_fma_f64 v[72:73], v[88:89], v[72:73], v[90:91]
	v_fma_f64 v[90:91], v[76:77], v[148:149], v[52:53]
	v_fma_f64 v[76:77], v[76:77], v[150:151], -v[54:55]
	v_add_f64 v[88:89], v[86:87], -v[74:75]
	v_add_f64 v[52:53], v[78:79], v[168:169]
	v_add_f64 v[54:55], v[94:95], v[92:93]
	;; [unrolled: 1-line block ×4, first 2 shown]
	v_add_f64 v[94:95], v[160:161], -v[72:73]
	v_add_f64 v[201:202], v[80:81], -v[76:77]
	v_mul_f64 v[96:97], v[88:89], s[22:23]
	v_add_f64 v[52:53], v[52:53], v[90:91]
	v_add_f64 v[54:55], v[54:55], v[76:77]
	v_mul_f64 v[98:99], v[86:87], s[18:19]
	v_mul_f64 v[160:161], v[88:89], s[6:7]
	;; [unrolled: 1-line block ×6, first 2 shown]
	v_add_f64 v[52:53], v[52:53], v[72:73]
	v_add_f64 v[54:55], v[54:55], v[74:75]
	v_mul_f64 v[72:73], v[88:89], s[12:13]
	v_mul_f64 v[74:75], v[86:87], s[14:15]
	;; [unrolled: 1-line block ×3, first 2 shown]
	v_add_f64 v[76:77], v[80:81], v[76:77]
	v_mul_f64 v[80:81], v[88:89], s[30:31]
	v_mul_f64 v[86:87], v[86:87], s[34:35]
	v_fma_f64 v[148:149], v[78:79], s[18:19], v[96:97]
	v_fma_f64 v[150:151], v[94:95], s[40:41], v[98:99]
	v_fma_f64 v[96:97], v[78:79], s[18:19], -v[96:97]
	v_fma_f64 v[98:99], v[94:95], s[22:23], v[98:99]
	v_fma_f64 v[177:178], v[78:79], s[14:15], v[72:73]
	v_fma_f64 v[179:180], v[94:95], s[42:43], v[74:75]
	v_fma_f64 v[72:73], v[78:79], s[14:15], -v[72:73]
	v_fma_f64 v[74:75], v[94:95], s[12:13], v[74:75]
	;; [unrolled: 4-line block ×5, first 2 shown]
	v_add_f64 v[191:192], v[162:163], v[90:91]
	v_add_f64 v[90:91], v[162:163], -v[90:91]
	v_mul_f64 v[162:163], v[201:202], s[12:13]
	v_mul_f64 v[203:204], v[76:77], s[14:15]
	v_fma_f64 v[205:206], v[78:79], s[34:35], v[80:81]
	v_fma_f64 v[207:208], v[94:95], s[44:45], v[86:87]
	v_fma_f64 v[78:79], v[78:79], s[34:35], -v[80:81]
	v_fma_f64 v[80:81], v[94:95], s[30:31], v[86:87]
	v_add_f64 v[148:149], v[82:83], v[148:149]
	v_add_f64 v[150:151], v[84:85], v[150:151]
	;; [unrolled: 1-line block ×20, first 2 shown]
	v_fma_f64 v[94:95], v[191:192], s[14:15], v[162:163]
	v_fma_f64 v[189:190], v[90:91], s[42:43], v[203:204]
	v_add_f64 v[205:206], v[82:83], v[205:206]
	v_add_f64 v[207:208], v[84:85], v[207:208]
	;; [unrolled: 1-line block ×4, first 2 shown]
	v_mul_f64 v[82:83], v[201:202], s[16:17]
	v_mul_f64 v[84:85], v[76:77], s[20:21]
	v_add_f64 v[94:95], v[94:95], v[148:149]
	v_add_f64 v[148:149], v[189:190], v[150:151]
	v_fma_f64 v[150:151], v[191:192], s[14:15], -v[162:163]
	v_fma_f64 v[162:163], v[90:91], s[12:13], v[203:204]
	v_mul_f64 v[189:190], v[201:202], s[30:31]
	v_mul_f64 v[203:204], v[76:77], s[34:35]
	v_fma_f64 v[209:210], v[191:192], s[20:21], v[82:83]
	v_fma_f64 v[211:212], v[90:91], s[38:39], v[84:85]
	v_fma_f64 v[82:83], v[191:192], s[20:21], -v[82:83]
	v_fma_f64 v[84:85], v[90:91], s[16:17], v[84:85]
	v_add_f64 v[96:97], v[150:151], v[96:97]
	v_add_f64 v[98:99], v[162:163], v[98:99]
	v_fma_f64 v[150:151], v[191:192], s[34:35], v[189:190]
	v_fma_f64 v[162:163], v[90:91], s[44:45], v[203:204]
	v_add_f64 v[177:178], v[209:210], v[177:178]
	v_add_f64 v[179:180], v[211:212], v[179:180]
	v_add_f64 v[72:73], v[82:83], v[72:73]
	v_add_f64 v[74:75], v[84:85], v[74:75]
	v_mul_f64 v[82:83], v[201:202], s[36:37]
	v_mul_f64 v[84:85], v[76:77], s[26:27]
	v_add_f64 v[150:151], v[150:151], v[181:182]
	v_add_f64 v[162:163], v[162:163], v[183:184]
	v_mul_f64 v[181:182], v[201:202], s[28:29]
	v_mul_f64 v[183:184], v[76:77], s[8:9]
	v_fma_f64 v[189:190], v[191:192], s[34:35], -v[189:190]
	v_fma_f64 v[203:204], v[90:91], s[30:31], v[203:204]
	v_fma_f64 v[209:210], v[191:192], s[26:27], v[82:83]
	v_fma_f64 v[211:212], v[90:91], s[24:25], v[84:85]
	v_fma_f64 v[82:83], v[191:192], s[26:27], -v[82:83]
	v_fma_f64 v[84:85], v[90:91], s[36:37], v[84:85]
	v_fma_f64 v[213:214], v[191:192], s[8:9], v[181:182]
	;; [unrolled: 1-line block ×3, first 2 shown]
	v_add_f64 v[160:161], v[189:190], v[160:161]
	v_mul_f64 v[76:77], v[76:77], s[18:19]
	v_add_f64 v[189:190], v[209:210], v[193:194]
	v_add_f64 v[193:194], v[211:212], v[195:196]
	v_add_f64 v[195:196], v[158:159], -v[92:93]
	v_add_f64 v[92:93], v[158:159], v[92:93]
	v_add_f64 v[82:83], v[82:83], v[185:186]
	;; [unrolled: 1-line block ×5, first 2 shown]
	v_mul_f64 v[158:159], v[201:202], s[40:41]
	v_fma_f64 v[181:182], v[191:192], s[8:9], -v[181:182]
	v_add_f64 v[197:198], v[156:157], v[168:169]
	v_add_f64 v[156:157], v[156:157], -v[168:169]
	v_mul_f64 v[168:169], v[195:196], s[6:7]
	v_mul_f64 v[199:200], v[92:93], s[8:9]
	v_add_f64 v[170:171], v[203:204], v[170:171]
	v_fma_f64 v[183:184], v[90:91], s[28:29], v[183:184]
	v_fma_f64 v[201:202], v[191:192], s[18:19], v[158:159]
	;; [unrolled: 1-line block ×3, first 2 shown]
	v_fma_f64 v[158:159], v[191:192], s[18:19], -v[158:159]
	v_fma_f64 v[76:77], v[90:91], s[40:41], v[76:77]
	v_add_f64 v[86:87], v[181:182], v[86:87]
	v_fma_f64 v[90:91], v[197:198], s[8:9], v[168:169]
	v_fma_f64 v[181:182], v[156:157], s[28:29], v[199:200]
	v_add_f64 v[88:89], v[183:184], v[88:89]
	v_add_f64 v[183:184], v[201:202], v[205:206]
	;; [unrolled: 1-line block ×5, first 2 shown]
	v_mul_f64 v[80:81], v[195:196], s[30:31]
	v_mul_f64 v[158:159], v[92:93], s[34:35]
	v_add_f64 v[90:91], v[90:91], v[94:95]
	v_add_f64 v[94:95], v[181:182], v[148:149]
	v_fma_f64 v[148:149], v[197:198], s[8:9], -v[168:169]
	v_fma_f64 v[168:169], v[156:157], s[6:7], v[199:200]
	v_mul_f64 v[181:182], v[195:196], s[38:39]
	v_mul_f64 v[199:200], v[92:93], s[20:21]
	v_fma_f64 v[201:202], v[197:198], s[34:35], v[80:81]
	v_fma_f64 v[203:204], v[156:157], s[44:45], v[158:159]
	v_fma_f64 v[80:81], v[197:198], s[34:35], -v[80:81]
	v_fma_f64 v[158:159], v[156:157], s[30:31], v[158:159]
	v_add_f64 v[96:97], v[148:149], v[96:97]
	v_add_f64 v[98:99], v[168:169], v[98:99]
	v_fma_f64 v[148:149], v[197:198], s[20:21], v[181:182]
	v_fma_f64 v[168:169], v[156:157], s[16:17], v[199:200]
	v_add_f64 v[177:178], v[201:202], v[177:178]
	v_add_f64 v[179:180], v[203:204], v[179:180]
	;; [unrolled: 1-line block ×4, first 2 shown]
	v_mul_f64 v[80:81], v[195:196], s[40:41]
	v_mul_f64 v[158:159], v[92:93], s[18:19]
	v_add_f64 v[148:149], v[148:149], v[150:151]
	v_add_f64 v[150:151], v[168:169], v[162:163]
	v_mul_f64 v[162:163], v[195:196], s[12:13]
	v_mul_f64 v[168:169], v[92:93], s[14:15]
	v_fma_f64 v[181:182], v[197:198], s[20:21], -v[181:182]
	v_fma_f64 v[199:200], v[156:157], s[38:39], v[199:200]
	v_fma_f64 v[201:202], v[197:198], s[18:19], v[80:81]
	;; [unrolled: 1-line block ×3, first 2 shown]
	v_fma_f64 v[80:81], v[197:198], s[18:19], -v[80:81]
	v_fma_f64 v[158:159], v[156:157], s[40:41], v[158:159]
	v_fma_f64 v[205:206], v[197:198], s[14:15], v[162:163]
	;; [unrolled: 1-line block ×3, first 2 shown]
	v_add_f64 v[160:161], v[181:182], v[160:161]
	v_mul_f64 v[92:93], v[92:93], s[26:27]
	v_add_f64 v[181:182], v[201:202], v[189:190]
	v_add_f64 v[189:190], v[203:204], v[193:194]
	v_add_f64 v[80:81], v[80:81], v[82:83]
	v_add_f64 v[82:83], v[158:159], v[84:85]
	v_add_f64 v[84:85], v[205:206], v[185:186]
	v_add_f64 v[185:186], v[166:167], -v[68:69]
	v_add_f64 v[68:69], v[166:167], v[68:69]
	v_add_f64 v[158:159], v[207:208], v[187:188]
	v_mul_f64 v[166:167], v[195:196], s[24:25]
	v_fma_f64 v[162:163], v[197:198], s[14:15], -v[162:163]
	v_add_f64 v[187:188], v[164:165], v[66:67]
	v_add_f64 v[66:67], v[164:165], -v[66:67]
	v_add_f64 v[170:171], v[199:200], v[170:171]
	v_mul_f64 v[164:165], v[185:186], s[16:17]
	v_mul_f64 v[193:194], v[68:69], s[20:21]
	v_fma_f64 v[168:169], v[156:157], s[12:13], v[168:169]
	v_fma_f64 v[195:196], v[197:198], s[26:27], v[166:167]
	;; [unrolled: 1-line block ×4, first 2 shown]
	v_add_f64 v[86:87], v[162:163], v[86:87]
	v_fma_f64 v[166:167], v[197:198], s[26:27], -v[166:167]
	v_fma_f64 v[156:157], v[187:188], s[20:21], v[164:165]
	v_fma_f64 v[162:163], v[66:67], s[38:39], v[193:194]
	v_add_f64 v[88:89], v[168:169], v[88:89]
	v_add_f64 v[168:169], v[195:196], v[183:184]
	;; [unrolled: 1-line block ×4, first 2 shown]
	v_mul_f64 v[92:93], v[185:186], s[36:37]
	v_mul_f64 v[191:192], v[68:69], s[18:19]
	v_add_f64 v[90:91], v[156:157], v[90:91]
	v_add_f64 v[94:95], v[162:163], v[94:95]
	v_fma_f64 v[156:157], v[187:188], s[20:21], -v[164:165]
	v_fma_f64 v[162:163], v[66:67], s[16:17], v[193:194]
	v_mul_f64 v[164:165], v[185:186], s[40:41]
	v_add_f64 v[78:79], v[166:167], v[78:79]
	v_mul_f64 v[166:167], v[68:69], s[26:27]
	v_fma_f64 v[193:194], v[187:188], s[26:27], v[92:93]
	v_fma_f64 v[92:93], v[187:188], s[26:27], -v[92:93]
	v_add_f64 v[96:97], v[156:157], v[96:97]
	v_add_f64 v[98:99], v[162:163], v[98:99]
	v_fma_f64 v[156:157], v[187:188], s[18:19], v[164:165]
	v_fma_f64 v[162:163], v[66:67], s[22:23], v[191:192]
	;; [unrolled: 1-line block ×4, first 2 shown]
	v_add_f64 v[72:73], v[92:93], v[72:73]
	v_mul_f64 v[92:93], v[185:186], s[6:7]
	v_add_f64 v[177:178], v[193:194], v[177:178]
	v_add_f64 v[148:149], v[156:157], v[148:149]
	;; [unrolled: 1-line block ×3, first 2 shown]
	v_fma_f64 v[156:157], v[187:188], s[18:19], -v[164:165]
	v_fma_f64 v[162:163], v[66:67], s[40:41], v[191:192]
	v_mul_f64 v[164:165], v[185:186], s[44:45]
	v_add_f64 v[74:75], v[166:167], v[74:75]
	v_mul_f64 v[166:167], v[68:69], s[8:9]
	v_mul_f64 v[191:192], v[68:69], s[34:35]
	v_fma_f64 v[193:194], v[187:188], s[8:9], v[92:93]
	v_fma_f64 v[92:93], v[187:188], s[8:9], -v[92:93]
	v_add_f64 v[156:157], v[156:157], v[160:161]
	v_add_f64 v[160:161], v[162:163], v[170:171]
	v_fma_f64 v[162:163], v[187:188], s[34:35], v[164:165]
	v_add_f64 v[179:180], v[195:196], v[179:180]
	v_fma_f64 v[195:196], v[66:67], s[28:29], v[166:167]
	v_fma_f64 v[166:167], v[66:67], s[6:7], v[166:167]
	;; [unrolled: 1-line block ×3, first 2 shown]
	v_add_f64 v[80:81], v[92:93], v[80:81]
	v_mul_f64 v[92:93], v[185:186], s[42:43]
	v_mul_f64 v[68:69], v[68:69], s[14:15]
	v_add_f64 v[84:85], v[162:163], v[84:85]
	v_add_f64 v[162:163], v[152:153], -v[60:61]
	v_add_f64 v[60:61], v[152:153], v[60:61]
	v_add_f64 v[82:83], v[166:167], v[82:83]
	;; [unrolled: 1-line block ×3, first 2 shown]
	v_fma_f64 v[152:153], v[187:188], s[34:35], -v[164:165]
	v_fma_f64 v[164:165], v[66:67], s[44:45], v[191:192]
	v_fma_f64 v[166:167], v[187:188], s[14:15], v[92:93]
	;; [unrolled: 1-line block ×3, first 2 shown]
	v_add_f64 v[185:186], v[70:71], v[154:155]
	v_add_f64 v[70:71], v[70:71], -v[154:155]
	v_mul_f64 v[154:155], v[162:163], s[24:25]
	v_mul_f64 v[191:192], v[60:61], s[26:27]
	v_fma_f64 v[92:93], v[187:188], s[14:15], -v[92:93]
	v_fma_f64 v[66:67], v[66:67], s[42:43], v[68:69]
	v_add_f64 v[68:69], v[152:153], v[86:87]
	v_add_f64 v[86:87], v[164:165], v[88:89]
	;; [unrolled: 1-line block ×4, first 2 shown]
	v_fma_f64 v[164:165], v[185:186], s[26:27], v[154:155]
	v_fma_f64 v[166:167], v[70:71], s[36:37], v[191:192]
	v_add_f64 v[78:79], v[92:93], v[78:79]
	v_add_f64 v[66:67], v[66:67], v[76:77]
	v_mul_f64 v[76:77], v[162:163], s[28:29]
	v_mul_f64 v[92:93], v[60:61], s[8:9]
	v_fma_f64 v[154:155], v[185:186], s[26:27], -v[154:155]
	v_fma_f64 v[168:169], v[70:71], s[24:25], v[191:192]
	v_add_f64 v[90:91], v[164:165], v[90:91]
	v_add_f64 v[94:95], v[166:167], v[94:95]
	v_mul_f64 v[164:165], v[162:163], s[12:13]
	v_mul_f64 v[166:167], v[60:61], s[14:15]
	v_fma_f64 v[170:171], v[185:186], s[8:9], v[76:77]
	v_fma_f64 v[183:184], v[70:71], s[6:7], v[92:93]
	v_add_f64 v[96:97], v[154:155], v[96:97]
	v_add_f64 v[98:99], v[168:169], v[98:99]
	v_fma_f64 v[76:77], v[185:186], s[8:9], -v[76:77]
	v_fma_f64 v[92:93], v[70:71], s[28:29], v[92:93]
	v_fma_f64 v[154:155], v[185:186], s[14:15], v[164:165]
	;; [unrolled: 1-line block ×3, first 2 shown]
	v_add_f64 v[170:171], v[170:171], v[177:178]
	v_add_f64 v[177:178], v[183:184], v[179:180]
	v_mul_f64 v[183:184], v[60:61], s[34:35]
	v_add_f64 v[189:190], v[195:196], v[189:190]
	v_mul_f64 v[179:180], v[162:163], s[44:45]
	v_add_f64 v[72:73], v[76:77], v[72:73]
	v_add_f64 v[74:75], v[92:93], v[74:75]
	v_add_f64 v[76:77], v[154:155], v[148:149]
	v_add_f64 v[92:93], v[168:169], v[150:151]
	v_fma_f64 v[148:149], v[185:186], s[14:15], -v[164:165]
	v_fma_f64 v[150:151], v[70:71], s[12:13], v[166:167]
	v_fma_f64 v[164:165], v[70:71], s[30:31], v[183:184]
	v_mul_f64 v[166:167], v[162:163], s[40:41]
	v_mul_f64 v[168:169], v[60:61], s[18:19]
	v_fma_f64 v[154:155], v[185:186], s[34:35], v[179:180]
	v_fma_f64 v[179:180], v[185:186], s[34:35], -v[179:180]
	v_add_f64 v[181:182], v[193:194], v[181:182]
	v_add_f64 v[148:149], v[148:149], v[156:157]
	v_add_f64 v[150:151], v[150:151], v[160:161]
	v_add_f64 v[156:157], v[164:165], v[189:190]
	v_fma_f64 v[160:161], v[185:186], s[18:19], v[166:167]
	v_fma_f64 v[164:165], v[70:71], s[22:23], v[168:169]
	;; [unrolled: 1-line block ×3, first 2 shown]
	v_add_f64 v[179:180], v[179:180], v[80:81]
	v_fma_f64 v[80:81], v[185:186], s[18:19], -v[166:167]
	v_mul_f64 v[162:163], v[162:163], s[16:17]
	v_mul_f64 v[60:61], v[60:61], s[20:21]
	v_add_f64 v[154:155], v[154:155], v[181:182]
	v_add_f64 v[160:161], v[160:161], v[84:85]
	v_add_f64 v[158:159], v[164:165], v[158:159]
	v_add_f64 v[84:85], v[58:59], -v[64:65]
	v_add_f64 v[164:165], v[58:59], v[64:65]
	v_add_f64 v[181:182], v[183:184], v[82:83]
	v_fma_f64 v[82:83], v[70:71], s[40:41], v[168:169]
	v_add_f64 v[166:167], v[80:81], v[68:69]
	v_fma_f64 v[58:59], v[185:186], s[20:21], v[162:163]
	v_fma_f64 v[64:65], v[70:71], s[38:39], v[60:61]
	v_add_f64 v[183:184], v[56:57], v[62:63]
	v_add_f64 v[187:188], v[56:57], -v[62:63]
	v_mul_f64 v[56:57], v[84:85], s[30:31]
	v_mul_f64 v[62:63], v[164:165], s[34:35]
	v_fma_f64 v[68:69], v[185:186], s[20:21], -v[162:163]
	v_fma_f64 v[60:61], v[70:71], s[16:17], v[60:61]
	v_mul_f64 v[70:71], v[84:85], s[40:41]
	v_mul_f64 v[80:81], v[164:165], s[18:19]
	v_add_f64 v[168:169], v[82:83], v[86:87]
	v_add_f64 v[162:163], v[58:59], v[88:89]
	v_add_f64 v[152:153], v[64:65], v[152:153]
	v_fma_f64 v[58:59], v[183:184], s[34:35], v[56:57]
	v_fma_f64 v[64:65], v[187:188], s[44:45], v[62:63]
	v_add_f64 v[185:186], v[68:69], v[78:79]
	v_add_f64 v[189:190], v[60:61], v[66:67]
	v_fma_f64 v[66:67], v[183:184], s[18:19], v[70:71]
	v_fma_f64 v[68:69], v[187:188], s[22:23], v[80:81]
	v_mul_f64 v[78:79], v[84:85], s[24:25]
	v_mul_f64 v[82:83], v[164:165], s[26:27]
	v_fma_f64 v[60:61], v[183:184], s[34:35], -v[56:57]
	v_add_f64 v[56:57], v[58:59], v[90:91]
	v_add_f64 v[58:59], v[64:65], v[94:95]
	v_mul_f64 v[88:89], v[84:85], s[42:43]
	v_add_f64 v[64:65], v[66:67], v[170:171]
	v_add_f64 v[66:67], v[68:69], v[177:178]
	v_fma_f64 v[68:69], v[183:184], s[18:19], -v[70:71]
	v_fma_f64 v[70:71], v[187:188], s[40:41], v[80:81]
	v_fma_f64 v[80:81], v[183:184], s[26:27], v[78:79]
	;; [unrolled: 1-line block ×3, first 2 shown]
	v_mul_f64 v[90:91], v[164:165], s[14:15]
	v_fma_f64 v[62:63], v[187:188], s[30:31], v[62:63]
	v_fma_f64 v[78:79], v[183:184], s[26:27], -v[78:79]
	v_fma_f64 v[82:83], v[187:188], s[24:25], v[82:83]
	v_add_f64 v[68:69], v[68:69], v[72:73]
	v_add_f64 v[70:71], v[70:71], v[74:75]
	;; [unrolled: 1-line block ×4, first 2 shown]
	v_fma_f64 v[80:81], v[183:184], s[14:15], v[88:89]
	v_fma_f64 v[86:87], v[187:188], s[12:13], v[90:91]
	v_fma_f64 v[88:89], v[183:184], s[14:15], -v[88:89]
	v_fma_f64 v[90:91], v[187:188], s[42:43], v[90:91]
	v_mul_f64 v[92:93], v[84:85], s[16:17]
	v_mul_f64 v[94:95], v[164:165], s[20:21]
	v_add_f64 v[60:61], v[60:61], v[96:97]
	v_add_f64 v[62:63], v[62:63], v[98:99]
	v_mul_f64 v[96:97], v[84:85], s[28:29]
	v_mul_f64 v[98:99], v[164:165], s[8:9]
	v_add_f64 v[76:77], v[78:79], v[148:149]
	v_add_f64 v[78:79], v[82:83], v[150:151]
	v_add_f64 v[82:83], v[86:87], v[156:157]
	v_add_f64 v[84:85], v[88:89], v[179:180]
	v_add_f64 v[86:87], v[90:91], v[181:182]
	v_fma_f64 v[88:89], v[183:184], s[20:21], v[92:93]
	v_fma_f64 v[90:91], v[187:188], s[38:39], v[94:95]
	;; [unrolled: 1-line block ×4, first 2 shown]
	v_add_f64 v[80:81], v[80:81], v[154:155]
	v_fma_f64 v[154:155], v[183:184], s[8:9], -v[96:97]
	v_fma_f64 v[156:157], v[187:188], s[28:29], v[98:99]
	v_fma_f64 v[92:93], v[183:184], s[20:21], -v[92:93]
	v_fma_f64 v[94:95], v[187:188], s[16:17], v[94:95]
	v_add_f64 v[88:89], v[88:89], v[160:161]
	v_add_f64 v[90:91], v[90:91], v[158:159]
	;; [unrolled: 1-line block ×8, first 2 shown]
	ds_write_b128 v176, v[52:55]
	ds_write_b128 v176, v[56:59] offset:208
	ds_write_b128 v176, v[64:67] offset:416
	;; [unrolled: 1-line block ×12, first 2 shown]
	s_waitcnt lgkmcnt(0)
	s_barrier
	ds_read_b128 v[52:55], v173 offset:2704
	ds_read_b128 v[56:59], v173 offset:5408
	;; [unrolled: 1-line block ×3, first 2 shown]
	s_waitcnt lgkmcnt(2)
	v_mul_f64 v[64:65], v[134:135], v[54:55]
	v_mul_f64 v[66:67], v[134:135], v[52:53]
	s_waitcnt lgkmcnt(1)
	v_mul_f64 v[70:71], v[130:131], v[58:59]
	v_mul_f64 v[72:73], v[130:131], v[56:57]
	v_fma_f64 v[82:83], v[132:133], v[52:53], v[64:65]
	v_fma_f64 v[84:85], v[132:133], v[54:55], -v[66:67]
	ds_read_b128 v[66:69], v173
	v_fma_f64 v[86:87], v[128:129], v[56:57], v[70:71]
	v_fma_f64 v[88:89], v[128:129], v[58:59], -v[72:73]
	s_waitcnt lgkmcnt(1)
	v_mul_f64 v[64:65], v[106:107], v[62:63]
	v_mul_f64 v[70:71], v[106:107], v[60:61]
	ds_read_b128 v[52:55], v173 offset:10816
	ds_read_b128 v[56:59], v173 offset:13520
	s_waitcnt lgkmcnt(2)
	v_add_f64 v[72:73], v[66:67], v[82:83]
	v_add_f64 v[74:75], v[68:69], v[84:85]
	s_waitcnt lgkmcnt(1)
	v_mul_f64 v[76:77], v[102:103], v[54:55]
	v_mul_f64 v[78:79], v[102:103], v[52:53]
	v_fma_f64 v[90:91], v[104:105], v[60:61], v[64:65]
	v_fma_f64 v[92:93], v[104:105], v[62:63], -v[70:71]
	s_waitcnt lgkmcnt(0)
	v_mul_f64 v[64:65], v[122:123], v[58:59]
	v_add_f64 v[60:61], v[72:73], v[86:87]
	v_add_f64 v[62:63], v[74:75], v[88:89]
	v_mul_f64 v[70:71], v[122:123], v[56:57]
	v_fma_f64 v[94:95], v[100:101], v[52:53], v[76:77]
	v_fma_f64 v[96:97], v[100:101], v[54:55], -v[78:79]
	ds_read_b128 v[52:55], v173 offset:16224
	v_fma_f64 v[64:65], v[120:121], v[56:57], v[64:65]
	v_add_f64 v[72:73], v[60:61], v[90:91]
	v_add_f64 v[74:75], v[62:63], v[92:93]
	ds_read_b128 v[60:63], v173 offset:18928
	s_waitcnt lgkmcnt(1)
	v_mul_f64 v[76:77], v[118:119], v[54:55]
	v_mul_f64 v[78:79], v[118:119], v[52:53]
	v_fma_f64 v[98:99], v[120:121], v[58:59], -v[70:71]
	v_add_f64 v[70:71], v[72:73], v[94:95]
	v_add_f64 v[72:73], v[74:75], v[96:97]
	s_waitcnt lgkmcnt(0)
	v_mul_f64 v[74:75], v[114:115], v[62:63]
	v_fma_f64 v[56:57], v[116:117], v[52:53], v[76:77]
	v_fma_f64 v[58:59], v[116:117], v[54:55], -v[78:79]
	v_mul_f64 v[76:77], v[114:115], v[60:61]
	ds_read_b128 v[52:55], v173 offset:21632
	v_add_f64 v[78:79], v[70:71], v[64:65]
	v_add_f64 v[80:81], v[72:73], v[98:99]
	ds_read_b128 v[70:73], v173 offset:24336
	s_waitcnt lgkmcnt(1)
	v_mul_f64 v[100:101], v[110:111], v[54:55]
	v_mul_f64 v[102:103], v[110:111], v[52:53]
	v_fma_f64 v[60:61], v[112:113], v[60:61], v[74:75]
	v_fma_f64 v[62:63], v[112:113], v[62:63], -v[76:77]
	s_waitcnt lgkmcnt(0)
	v_mul_f64 v[104:105], v[146:147], v[72:73]
	v_add_f64 v[78:79], v[78:79], v[56:57]
	v_add_f64 v[80:81], v[80:81], v[58:59]
	v_mul_f64 v[106:107], v[146:147], v[70:71]
	v_fma_f64 v[100:101], v[108:109], v[52:53], v[100:101]
	v_fma_f64 v[102:103], v[108:109], v[54:55], -v[102:103]
	ds_read_b128 v[52:55], v173 offset:27040
	ds_read_b128 v[74:77], v173 offset:32448
	v_fma_f64 v[70:71], v[144:145], v[70:71], v[104:105]
	v_add_f64 v[108:109], v[78:79], v[60:61]
	v_add_f64 v[110:111], v[80:81], v[62:63]
	ds_read_b128 v[78:81], v173 offset:29744
	s_waitcnt lgkmcnt(2)
	v_mul_f64 v[112:113], v[142:143], v[54:55]
	v_mul_f64 v[116:117], v[142:143], v[52:53]
	v_fma_f64 v[72:73], v[144:145], v[72:73], -v[106:107]
	s_waitcnt lgkmcnt(1)
	v_mul_f64 v[114:115], v[138:139], v[74:75]
	v_add_f64 v[104:105], v[108:109], v[100:101]
	v_add_f64 v[106:107], v[110:111], v[102:103]
	v_mul_f64 v[108:109], v[138:139], v[76:77]
	v_fma_f64 v[110:111], v[140:141], v[52:53], v[112:113]
	v_fma_f64 v[112:113], v[140:141], v[54:55], -v[116:117]
	s_waitcnt lgkmcnt(0)
	v_mul_f64 v[52:53], v[126:127], v[80:81]
	v_mul_f64 v[54:55], v[126:127], v[78:79]
	v_fma_f64 v[76:77], v[136:137], v[76:77], -v[114:115]
	v_add_f64 v[104:105], v[104:105], v[70:71]
	v_add_f64 v[106:107], v[106:107], v[72:73]
	v_fma_f64 v[74:75], v[136:137], v[74:75], v[108:109]
	v_fma_f64 v[78:79], v[124:125], v[78:79], v[52:53]
	v_fma_f64 v[80:81], v[124:125], v[80:81], -v[54:55]
	v_add_f64 v[108:109], v[84:85], -v[76:77]
	v_add_f64 v[52:53], v[104:105], v[110:111]
	v_add_f64 v[54:55], v[106:107], v[112:113]
	;; [unrolled: 1-line block ×4, first 2 shown]
	v_add_f64 v[82:83], v[82:83], -v[74:75]
	v_add_f64 v[148:149], v[88:89], -v[80:81]
	v_mul_f64 v[106:107], v[108:109], s[22:23]
	v_add_f64 v[52:53], v[52:53], v[78:79]
	v_add_f64 v[54:55], v[54:55], v[80:81]
	v_mul_f64 v[114:115], v[84:85], s[18:19]
	v_mul_f64 v[120:121], v[108:109], s[6:7]
	;; [unrolled: 1-line block ×6, first 2 shown]
	v_add_f64 v[52:53], v[52:53], v[74:75]
	v_add_f64 v[54:55], v[54:55], v[76:77]
	v_mul_f64 v[74:75], v[108:109], s[12:13]
	v_mul_f64 v[76:77], v[84:85], s[14:15]
	;; [unrolled: 1-line block ×3, first 2 shown]
	v_add_f64 v[80:81], v[88:89], v[80:81]
	v_mul_f64 v[88:89], v[108:109], s[30:31]
	v_mul_f64 v[84:85], v[84:85], s[34:35]
	v_fma_f64 v[116:117], v[104:105], s[18:19], v[106:107]
	v_fma_f64 v[118:119], v[82:83], s[40:41], v[114:115]
	v_fma_f64 v[106:107], v[104:105], s[18:19], -v[106:107]
	v_fma_f64 v[114:115], v[82:83], s[22:23], v[114:115]
	v_fma_f64 v[124:125], v[104:105], s[14:15], v[74:75]
	v_fma_f64 v[126:127], v[82:83], s[42:43], v[76:77]
	v_fma_f64 v[74:75], v[104:105], s[14:15], -v[74:75]
	v_fma_f64 v[76:77], v[82:83], s[12:13], v[76:77]
	;; [unrolled: 4-line block ×5, first 2 shown]
	v_add_f64 v[138:139], v[86:87], v[78:79]
	v_add_f64 v[78:79], v[86:87], -v[78:79]
	v_mul_f64 v[86:87], v[148:149], s[12:13]
	v_mul_f64 v[150:151], v[80:81], s[14:15]
	v_fma_f64 v[152:153], v[104:105], s[34:35], v[88:89]
	v_fma_f64 v[154:155], v[82:83], s[44:45], v[84:85]
	v_fma_f64 v[88:89], v[104:105], s[34:35], -v[88:89]
	v_fma_f64 v[82:83], v[82:83], s[30:31], v[84:85]
	v_add_f64 v[116:117], v[66:67], v[116:117]
	v_add_f64 v[118:119], v[68:69], v[118:119]
	;; [unrolled: 1-line block ×20, first 2 shown]
	v_fma_f64 v[108:109], v[138:139], s[14:15], v[86:87]
	v_fma_f64 v[136:137], v[78:79], s[42:43], v[150:151]
	v_add_f64 v[152:153], v[66:67], v[152:153]
	v_add_f64 v[154:155], v[68:69], v[154:155]
	;; [unrolled: 1-line block ×4, first 2 shown]
	v_mul_f64 v[82:83], v[148:149], s[16:17]
	v_mul_f64 v[88:89], v[80:81], s[20:21]
	v_add_f64 v[108:109], v[108:109], v[116:117]
	v_add_f64 v[116:117], v[136:137], v[118:119]
	v_fma_f64 v[86:87], v[138:139], s[14:15], -v[86:87]
	v_fma_f64 v[118:119], v[78:79], s[12:13], v[150:151]
	v_mul_f64 v[136:137], v[148:149], s[30:31]
	v_mul_f64 v[150:151], v[80:81], s[34:35]
	v_fma_f64 v[156:157], v[138:139], s[20:21], v[82:83]
	v_fma_f64 v[158:159], v[78:79], s[38:39], v[88:89]
	v_fma_f64 v[82:83], v[138:139], s[20:21], -v[82:83]
	v_fma_f64 v[88:89], v[78:79], s[16:17], v[88:89]
	v_add_f64 v[86:87], v[86:87], v[106:107]
	v_add_f64 v[106:107], v[118:119], v[114:115]
	v_fma_f64 v[114:115], v[138:139], s[34:35], v[136:137]
	v_fma_f64 v[118:119], v[78:79], s[44:45], v[150:151]
	v_add_f64 v[124:125], v[156:157], v[124:125]
	v_add_f64 v[126:127], v[158:159], v[126:127]
	;; [unrolled: 1-line block ×4, first 2 shown]
	v_mul_f64 v[82:83], v[148:149], s[36:37]
	v_mul_f64 v[88:89], v[80:81], s[26:27]
	v_add_f64 v[114:115], v[114:115], v[128:129]
	v_add_f64 v[118:119], v[118:119], v[130:131]
	v_mul_f64 v[128:129], v[148:149], s[28:29]
	v_mul_f64 v[130:131], v[80:81], s[8:9]
	v_fma_f64 v[136:137], v[138:139], s[34:35], -v[136:137]
	v_fma_f64 v[150:151], v[78:79], s[30:31], v[150:151]
	v_fma_f64 v[156:157], v[138:139], s[26:27], v[82:83]
	;; [unrolled: 1-line block ×3, first 2 shown]
	v_fma_f64 v[82:83], v[138:139], s[26:27], -v[82:83]
	v_fma_f64 v[88:89], v[78:79], s[36:37], v[88:89]
	v_fma_f64 v[160:161], v[138:139], s[8:9], v[128:129]
	;; [unrolled: 1-line block ×3, first 2 shown]
	v_add_f64 v[120:121], v[136:137], v[120:121]
	v_mul_f64 v[80:81], v[80:81], s[18:19]
	v_add_f64 v[136:137], v[156:157], v[140:141]
	v_add_f64 v[140:141], v[158:159], v[142:143]
	v_add_f64 v[142:143], v[92:93], -v[112:113]
	v_add_f64 v[92:93], v[92:93], v[112:113]
	v_add_f64 v[82:83], v[82:83], v[132:133]
	;; [unrolled: 1-line block ×5, first 2 shown]
	v_mul_f64 v[112:113], v[148:149], s[40:41]
	v_fma_f64 v[128:129], v[138:139], s[8:9], -v[128:129]
	v_fma_f64 v[130:131], v[78:79], s[28:29], v[130:131]
	v_add_f64 v[144:145], v[90:91], v[110:111]
	v_add_f64 v[90:91], v[90:91], -v[110:111]
	v_mul_f64 v[110:111], v[142:143], s[6:7]
	v_mul_f64 v[146:147], v[92:93], s[8:9]
	v_add_f64 v[122:123], v[150:151], v[122:123]
	v_fma_f64 v[148:149], v[138:139], s[18:19], v[112:113]
	v_fma_f64 v[150:151], v[78:79], s[22:23], v[80:81]
	v_fma_f64 v[112:113], v[138:139], s[18:19], -v[112:113]
	v_fma_f64 v[78:79], v[78:79], s[40:41], v[80:81]
	v_add_f64 v[80:81], v[128:129], v[84:85]
	v_add_f64 v[84:85], v[130:131], v[104:105]
	v_fma_f64 v[104:105], v[144:145], s[8:9], v[110:111]
	v_fma_f64 v[128:129], v[90:91], s[28:29], v[146:147]
	v_fma_f64 v[110:111], v[144:145], s[8:9], -v[110:111]
	v_add_f64 v[130:131], v[148:149], v[152:153]
	v_add_f64 v[66:67], v[112:113], v[66:67]
	;; [unrolled: 1-line block ×3, first 2 shown]
	v_mul_f64 v[78:79], v[142:143], s[30:31]
	v_mul_f64 v[112:113], v[92:93], s[34:35]
	v_add_f64 v[104:105], v[104:105], v[108:109]
	v_add_f64 v[108:109], v[128:129], v[116:117]
	v_fma_f64 v[116:117], v[90:91], s[6:7], v[146:147]
	v_mul_f64 v[128:129], v[142:143], s[38:39]
	v_mul_f64 v[146:147], v[92:93], s[20:21]
	v_add_f64 v[138:139], v[150:151], v[154:155]
	v_fma_f64 v[148:149], v[144:145], s[34:35], v[78:79]
	v_fma_f64 v[150:151], v[90:91], s[44:45], v[112:113]
	v_fma_f64 v[78:79], v[144:145], s[34:35], -v[78:79]
	v_fma_f64 v[112:113], v[90:91], s[30:31], v[112:113]
	v_add_f64 v[86:87], v[110:111], v[86:87]
	v_add_f64 v[106:107], v[116:117], v[106:107]
	v_fma_f64 v[110:111], v[144:145], s[20:21], v[128:129]
	v_fma_f64 v[116:117], v[90:91], s[16:17], v[146:147]
	v_add_f64 v[124:125], v[148:149], v[124:125]
	v_add_f64 v[126:127], v[150:151], v[126:127]
	;; [unrolled: 1-line block ×4, first 2 shown]
	v_mul_f64 v[78:79], v[142:143], s[40:41]
	v_mul_f64 v[112:113], v[92:93], s[18:19]
	v_add_f64 v[110:111], v[110:111], v[114:115]
	v_add_f64 v[114:115], v[116:117], v[118:119]
	v_mul_f64 v[116:117], v[142:143], s[12:13]
	v_mul_f64 v[118:119], v[92:93], s[14:15]
	v_fma_f64 v[128:129], v[144:145], s[20:21], -v[128:129]
	v_fma_f64 v[146:147], v[90:91], s[38:39], v[146:147]
	v_fma_f64 v[148:149], v[144:145], s[18:19], v[78:79]
	;; [unrolled: 1-line block ×3, first 2 shown]
	v_fma_f64 v[78:79], v[144:145], s[18:19], -v[78:79]
	v_fma_f64 v[112:113], v[90:91], s[40:41], v[112:113]
	v_fma_f64 v[152:153], v[144:145], s[14:15], v[116:117]
	;; [unrolled: 1-line block ×3, first 2 shown]
	v_add_f64 v[120:121], v[128:129], v[120:121]
	v_mul_f64 v[92:93], v[92:93], s[26:27]
	v_add_f64 v[128:129], v[148:149], v[136:137]
	v_add_f64 v[136:137], v[150:151], v[140:141]
	;; [unrolled: 1-line block ×5, first 2 shown]
	v_add_f64 v[132:133], v[96:97], -v[72:73]
	v_add_f64 v[72:73], v[96:97], v[72:73]
	v_add_f64 v[112:113], v[154:155], v[134:135]
	v_mul_f64 v[96:97], v[142:143], s[24:25]
	v_fma_f64 v[116:117], v[144:145], s[14:15], -v[116:117]
	v_add_f64 v[134:135], v[94:95], v[70:71]
	v_add_f64 v[70:71], v[94:95], -v[70:71]
	v_add_f64 v[122:123], v[146:147], v[122:123]
	v_mul_f64 v[94:95], v[132:133], s[16:17]
	v_mul_f64 v[140:141], v[72:73], s[20:21]
	v_fma_f64 v[118:119], v[90:91], s[12:13], v[118:119]
	v_fma_f64 v[142:143], v[144:145], s[26:27], v[96:97]
	v_fma_f64 v[146:147], v[90:91], s[36:37], v[92:93]
	v_fma_f64 v[96:97], v[144:145], s[26:27], -v[96:97]
	v_fma_f64 v[90:91], v[90:91], s[24:25], v[92:93]
	v_add_f64 v[80:81], v[116:117], v[80:81]
	v_fma_f64 v[92:93], v[134:135], s[20:21], v[94:95]
	v_fma_f64 v[116:117], v[70:71], s[38:39], v[140:141]
	v_add_f64 v[84:85], v[118:119], v[84:85]
	v_add_f64 v[118:119], v[142:143], v[130:131]
	;; [unrolled: 1-line block ×5, first 2 shown]
	v_mul_f64 v[90:91], v[132:133], s[36:37]
	v_mul_f64 v[96:97], v[72:73], s[26:27]
	v_add_f64 v[92:93], v[92:93], v[104:105]
	v_add_f64 v[104:105], v[116:117], v[108:109]
	v_fma_f64 v[94:95], v[134:135], s[20:21], -v[94:95]
	v_fma_f64 v[108:109], v[70:71], s[16:17], v[140:141]
	v_mul_f64 v[138:139], v[72:73], s[18:19]
	v_mul_f64 v[116:117], v[132:133], s[40:41]
	v_fma_f64 v[140:141], v[134:135], s[26:27], v[90:91]
	v_fma_f64 v[142:143], v[70:71], s[24:25], v[96:97]
	v_fma_f64 v[90:91], v[134:135], s[26:27], -v[90:91]
	v_fma_f64 v[96:97], v[70:71], s[36:37], v[96:97]
	v_add_f64 v[86:87], v[94:95], v[86:87]
	v_add_f64 v[94:95], v[108:109], v[106:107]
	v_fma_f64 v[108:109], v[70:71], s[22:23], v[138:139]
	v_fma_f64 v[106:107], v[134:135], s[18:19], v[116:117]
	v_add_f64 v[124:125], v[140:141], v[124:125]
	v_add_f64 v[126:127], v[142:143], v[126:127]
	v_add_f64 v[74:75], v[90:91], v[74:75]
	v_add_f64 v[76:77], v[96:97], v[76:77]
	v_mul_f64 v[90:91], v[132:133], s[6:7]
	v_mul_f64 v[96:97], v[72:73], s[8:9]
	v_add_f64 v[108:109], v[108:109], v[114:115]
	v_fma_f64 v[114:115], v[70:71], s[40:41], v[138:139]
	v_mul_f64 v[138:139], v[72:73], s[34:35]
	v_add_f64 v[106:107], v[106:107], v[110:111]
	v_fma_f64 v[110:111], v[134:135], s[18:19], -v[116:117]
	v_mul_f64 v[116:117], v[132:133], s[44:45]
	v_fma_f64 v[140:141], v[134:135], s[8:9], v[90:91]
	v_fma_f64 v[142:143], v[70:71], s[28:29], v[96:97]
	v_fma_f64 v[90:91], v[134:135], s[8:9], -v[90:91]
	v_fma_f64 v[96:97], v[70:71], s[6:7], v[96:97]
	v_add_f64 v[114:115], v[114:115], v[122:123]
	v_fma_f64 v[122:123], v[70:71], s[30:31], v[138:139]
	v_add_f64 v[110:111], v[110:111], v[120:121]
	v_fma_f64 v[120:121], v[134:135], s[34:35], v[116:117]
	v_mul_f64 v[72:73], v[72:73], s[14:15]
	v_add_f64 v[136:137], v[142:143], v[136:137]
	v_add_f64 v[78:79], v[90:91], v[78:79]
	;; [unrolled: 1-line block ×3, first 2 shown]
	v_mul_f64 v[90:91], v[132:133], s[42:43]
	v_add_f64 v[96:97], v[122:123], v[112:113]
	v_add_f64 v[112:113], v[98:99], -v[102:103]
	v_add_f64 v[98:99], v[98:99], v[102:103]
	v_add_f64 v[88:89], v[120:121], v[88:89]
	v_fma_f64 v[102:103], v[134:135], s[34:35], -v[116:117]
	v_fma_f64 v[116:117], v[70:71], s[44:45], v[138:139]
	v_fma_f64 v[122:123], v[70:71], s[12:13], v[72:73]
	;; [unrolled: 1-line block ×3, first 2 shown]
	v_add_f64 v[132:133], v[64:65], v[100:101]
	v_add_f64 v[64:65], v[64:65], -v[100:101]
	v_mul_f64 v[100:101], v[112:113], s[24:25]
	v_mul_f64 v[138:139], v[98:99], s[26:27]
	v_fma_f64 v[90:91], v[134:135], s[14:15], -v[90:91]
	v_fma_f64 v[70:71], v[70:71], s[42:43], v[72:73]
	v_add_f64 v[72:73], v[102:103], v[80:81]
	v_add_f64 v[80:81], v[116:117], v[84:85]
	;; [unrolled: 1-line block ×4, first 2 shown]
	v_fma_f64 v[116:117], v[132:133], s[26:27], v[100:101]
	v_fma_f64 v[118:119], v[64:65], s[36:37], v[138:139]
	v_add_f64 v[66:67], v[90:91], v[66:67]
	v_add_f64 v[68:69], v[70:71], v[68:69]
	v_mul_f64 v[70:71], v[112:113], s[28:29]
	v_mul_f64 v[90:91], v[98:99], s[8:9]
	v_fma_f64 v[100:101], v[132:133], s[26:27], -v[100:101]
	v_fma_f64 v[120:121], v[64:65], s[24:25], v[138:139]
	v_add_f64 v[92:93], v[116:117], v[92:93]
	v_add_f64 v[104:105], v[118:119], v[104:105]
	v_mul_f64 v[116:117], v[112:113], s[12:13]
	v_mul_f64 v[118:119], v[98:99], s[14:15]
	v_fma_f64 v[122:123], v[132:133], s[8:9], v[70:71]
	v_fma_f64 v[130:131], v[64:65], s[6:7], v[90:91]
	v_add_f64 v[86:87], v[100:101], v[86:87]
	v_add_f64 v[94:95], v[120:121], v[94:95]
	v_fma_f64 v[70:71], v[132:133], s[8:9], -v[70:71]
	v_fma_f64 v[90:91], v[64:65], s[28:29], v[90:91]
	v_fma_f64 v[100:101], v[132:133], s[14:15], v[116:117]
	v_fma_f64 v[120:121], v[64:65], s[42:43], v[118:119]
	v_add_f64 v[122:123], v[122:123], v[124:125]
	v_add_f64 v[124:125], v[130:131], v[126:127]
	v_mul_f64 v[130:131], v[98:99], s[34:35]
	v_mul_f64 v[126:127], v[112:113], s[44:45]
	v_add_f64 v[70:71], v[70:71], v[74:75]
	v_add_f64 v[74:75], v[90:91], v[76:77]
	;; [unrolled: 1-line block ×4, first 2 shown]
	v_fma_f64 v[100:101], v[132:133], s[14:15], -v[116:117]
	v_fma_f64 v[106:107], v[64:65], s[12:13], v[118:119]
	v_fma_f64 v[116:117], v[64:65], s[30:31], v[130:131]
	v_mul_f64 v[118:119], v[112:113], s[40:41]
	v_mul_f64 v[120:121], v[98:99], s[18:19]
	v_add_f64 v[128:129], v[140:141], v[128:129]
	v_fma_f64 v[108:109], v[132:133], s[34:35], v[126:127]
	v_fma_f64 v[126:127], v[132:133], s[34:35], -v[126:127]
	v_fma_f64 v[130:131], v[64:65], s[44:45], v[130:131]
	v_add_f64 v[100:101], v[100:101], v[110:111]
	v_add_f64 v[106:107], v[106:107], v[114:115]
	;; [unrolled: 1-line block ×3, first 2 shown]
	v_fma_f64 v[114:115], v[132:133], s[18:19], v[118:119]
	v_fma_f64 v[116:117], v[64:65], s[22:23], v[120:121]
	v_add_f64 v[108:109], v[108:109], v[128:129]
	v_add_f64 v[126:127], v[126:127], v[78:79]
	;; [unrolled: 1-line block ×3, first 2 shown]
	v_fma_f64 v[78:79], v[132:133], s[18:19], -v[118:119]
	v_fma_f64 v[82:83], v[64:65], s[40:41], v[120:121]
	v_mul_f64 v[112:113], v[112:113], s[16:17]
	v_mul_f64 v[98:99], v[98:99], s[20:21]
	v_add_f64 v[88:89], v[114:115], v[88:89]
	v_add_f64 v[96:97], v[116:117], v[96:97]
	v_add_f64 v[114:115], v[58:59], -v[62:63]
	v_add_f64 v[116:117], v[58:59], v[62:63]
	v_add_f64 v[118:119], v[78:79], v[72:73]
	;; [unrolled: 1-line block ×3, first 2 shown]
	v_fma_f64 v[58:59], v[132:133], s[20:21], v[112:113]
	v_fma_f64 v[62:63], v[64:65], s[38:39], v[98:99]
	v_add_f64 v[130:131], v[56:57], v[60:61]
	v_add_f64 v[134:135], v[56:57], -v[60:61]
	v_mul_f64 v[56:57], v[114:115], s[30:31]
	v_mul_f64 v[60:61], v[116:117], s[34:35]
	v_fma_f64 v[72:73], v[132:133], s[20:21], -v[112:113]
	v_fma_f64 v[64:65], v[64:65], s[16:17], v[98:99]
	v_mul_f64 v[78:79], v[114:115], s[40:41]
	v_mul_f64 v[80:81], v[116:117], s[18:19]
	v_add_f64 v[98:99], v[58:59], v[84:85]
	v_add_f64 v[102:103], v[62:63], v[102:103]
	v_fma_f64 v[58:59], v[130:131], s[34:35], v[56:57]
	v_fma_f64 v[62:63], v[134:135], s[44:45], v[60:61]
	v_add_f64 v[112:113], v[72:73], v[66:67]
	v_add_f64 v[132:133], v[64:65], v[68:69]
	v_fma_f64 v[64:65], v[130:131], s[34:35], -v[56:57]
	v_fma_f64 v[66:67], v[134:135], s[30:31], v[60:61]
	v_fma_f64 v[68:69], v[130:131], s[18:19], v[78:79]
	;; [unrolled: 1-line block ×3, first 2 shown]
	v_mul_f64 v[84:85], v[116:117], s[26:27]
	v_mul_f64 v[82:83], v[114:115], s[24:25]
	v_add_f64 v[56:57], v[58:59], v[92:93]
	v_add_f64 v[58:59], v[62:63], v[104:105]
	;; [unrolled: 1-line block ×6, first 2 shown]
	v_fma_f64 v[68:69], v[130:131], s[18:19], -v[78:79]
	v_fma_f64 v[72:73], v[134:135], s[40:41], v[80:81]
	v_fma_f64 v[80:81], v[134:135], s[36:37], v[84:85]
	v_mul_f64 v[92:93], v[116:117], s[14:15]
	v_fma_f64 v[78:79], v[130:131], s[26:27], v[82:83]
	v_mul_f64 v[86:87], v[114:115], s[42:43]
	v_fma_f64 v[84:85], v[134:135], s[24:25], v[84:85]
	v_fma_f64 v[82:83], v[130:131], s[26:27], -v[82:83]
	v_add_f64 v[68:69], v[68:69], v[70:71]
	v_add_f64 v[70:71], v[72:73], v[74:75]
	;; [unrolled: 1-line block ×3, first 2 shown]
	v_fma_f64 v[90:91], v[134:135], s[12:13], v[92:93]
	v_add_f64 v[72:73], v[78:79], v[76:77]
	v_fma_f64 v[80:81], v[130:131], s[14:15], v[86:87]
	v_add_f64 v[78:79], v[84:85], v[106:107]
	v_fma_f64 v[84:85], v[130:131], s[14:15], -v[86:87]
	v_fma_f64 v[86:87], v[134:135], s[42:43], v[92:93]
	v_mul_f64 v[92:93], v[114:115], s[16:17]
	v_mul_f64 v[94:95], v[116:117], s[20:21]
	v_add_f64 v[76:77], v[82:83], v[100:101]
	v_add_f64 v[82:83], v[90:91], v[110:111]
	v_mul_f64 v[90:91], v[114:115], s[28:29]
	v_mul_f64 v[100:101], v[116:117], s[8:9]
	v_add_f64 v[80:81], v[80:81], v[108:109]
	v_add_f64 v[84:85], v[84:85], v[126:127]
	v_fma_f64 v[104:105], v[130:131], s[20:21], v[92:93]
	v_fma_f64 v[106:107], v[134:135], s[38:39], v[94:95]
	v_fma_f64 v[92:93], v[130:131], s[20:21], -v[92:93]
	v_fma_f64 v[94:95], v[134:135], s[16:17], v[94:95]
	v_fma_f64 v[108:109], v[130:131], s[8:9], v[90:91]
	;; [unrolled: 1-line block ×3, first 2 shown]
	v_fma_f64 v[114:115], v[130:131], s[8:9], -v[90:91]
	v_fma_f64 v[116:117], v[134:135], s[28:29], v[100:101]
	v_add_f64 v[88:89], v[104:105], v[88:89]
	v_add_f64 v[90:91], v[106:107], v[96:97]
	;; [unrolled: 1-line block ×9, first 2 shown]
	ds_write_b128 v173, v[52:55]
	ds_write_b128 v173, v[56:59] offset:2704
	ds_write_b128 v173, v[64:67] offset:5408
	ds_write_b128 v173, v[72:75] offset:8112
	ds_write_b128 v173, v[80:83] offset:10816
	ds_write_b128 v173, v[88:91] offset:13520
	ds_write_b128 v173, v[96:99] offset:16224
	ds_write_b128 v173, v[100:103] offset:18928
	ds_write_b128 v173, v[92:95] offset:21632
	ds_write_b128 v173, v[84:87] offset:24336
	ds_write_b128 v173, v[76:79] offset:27040
	ds_write_b128 v173, v[68:71] offset:29744
	ds_write_b128 v173, v[60:63] offset:32448
	s_waitcnt lgkmcnt(0)
	s_barrier
	ds_read_b128 v[52:55], v173
	ds_read_b128 v[56:59], v173 offset:2704
	v_mad_u64_u32 v[60:61], s[6:7], s2, v172, 0
	s_waitcnt lgkmcnt(1)
	v_mul_f64 v[62:63], v[42:43], v[54:55]
	v_mul_f64 v[42:43], v[42:43], v[52:53]
	v_mad_u64_u32 v[64:65], s[2:3], s3, v172, v[61:62]
	v_mad_u64_u32 v[65:66], s[2:3], s0, v174, 0
	v_fma_f64 v[52:53], v[40:41], v[52:53], v[62:63]
	v_fma_f64 v[42:43], v[40:41], v[54:55], -v[42:43]
	v_mov_b32_e32 v40, v66
	v_mad_u64_u32 v[54:55], s[2:3], s1, v174, v[40:41]
	s_mov_b32 s2, 0xaab49c24
	s_mov_b32 s3, 0x3f3dd46b
	v_mov_b32_e32 v66, v54
	s_waitcnt lgkmcnt(0)
	v_mul_f64 v[54:55], v[26:27], v[58:59]
	v_mul_f64 v[26:27], v[26:27], v[56:57]
	v_mov_b32_e32 v61, v64
	v_mul_f64 v[40:41], v[52:53], s[2:3]
	v_mul_f64 v[42:43], v[42:43], s[2:3]
	v_lshlrev_b64 v[52:53], 4, v[60:61]
	v_mov_b32_e32 v60, s5
	v_add_co_u32_e32 v61, vcc, s4, v52
	v_fma_f64 v[54:55], v[24:25], v[56:57], v[54:55]
	v_fma_f64 v[56:57], v[24:25], v[58:59], -v[26:27]
	ds_read_b128 v[24:27], v173 offset:5408
	v_addc_co_u32_e32 v60, vcc, v60, v53, vcc
	v_lshlrev_b64 v[52:53], 4, v[65:66]
	s_mulk_i32 s1, 0xa90
	v_add_co_u32_e32 v58, vcc, v61, v52
	v_addc_co_u32_e32 v59, vcc, v60, v53, vcc
	global_store_dwordx4 v[58:59], v[40:43], off
	s_mul_hi_u32 s4, s0, 0xa90
	v_mul_f64 v[40:41], v[54:55], s[2:3]
	ds_read_b128 v[52:55], v173 offset:8112
	s_waitcnt lgkmcnt(1)
	v_mul_f64 v[60:61], v[30:31], v[26:27]
	v_mul_f64 v[30:31], v[30:31], v[24:25]
	;; [unrolled: 1-line block ×3, first 2 shown]
	s_add_i32 s1, s4, s1
	s_waitcnt lgkmcnt(0)
	v_mul_f64 v[56:57], v[2:3], v[54:55]
	v_mul_f64 v[2:3], v[2:3], v[52:53]
	s_mulk_i32 s0, 0xa90
	v_mov_b32_e32 v62, s1
	v_fma_f64 v[24:25], v[28:29], v[24:25], v[60:61]
	v_fma_f64 v[26:27], v[28:29], v[26:27], -v[30:31]
	v_add_co_u32_e32 v58, vcc, s0, v58
	v_addc_co_u32_e32 v59, vcc, v59, v62, vcc
	global_store_dwordx4 v[58:59], v[40:43], off
	ds_read_b128 v[28:31], v173 offset:10816
	v_mul_f64 v[24:25], v[24:25], s[2:3]
	v_mul_f64 v[26:27], v[26:27], s[2:3]
	v_fma_f64 v[40:41], v[0:1], v[52:53], v[56:57]
	v_fma_f64 v[42:43], v[0:1], v[54:55], -v[2:3]
	ds_read_b128 v[0:3], v173 offset:13520
	s_waitcnt lgkmcnt(1)
	v_mul_f64 v[52:53], v[6:7], v[30:31]
	v_mul_f64 v[6:7], v[6:7], v[28:29]
	v_mov_b32_e32 v60, s1
	v_add_co_u32_e32 v54, vcc, s0, v58
	v_addc_co_u32_e32 v55, vcc, v59, v60, vcc
	global_store_dwordx4 v[54:55], v[24:27], off
	v_fma_f64 v[28:29], v[4:5], v[28:29], v[52:53]
	v_mul_f64 v[24:25], v[40:41], s[2:3]
	v_mul_f64 v[26:27], v[42:43], s[2:3]
	v_fma_f64 v[6:7], v[4:5], v[30:31], -v[6:7]
	s_waitcnt lgkmcnt(0)
	v_mul_f64 v[30:31], v[46:47], v[2:3]
	v_mul_f64 v[40:41], v[46:47], v[0:1]
	v_mov_b32_e32 v43, s1
	v_add_co_u32_e32 v42, vcc, s0, v54
	v_addc_co_u32_e32 v43, vcc, v55, v43, vcc
	global_store_dwordx4 v[42:43], v[24:27], off
	ds_read_b128 v[24:27], v173 offset:16224
	v_mul_f64 v[4:5], v[28:29], s[2:3]
	v_mul_f64 v[6:7], v[6:7], s[2:3]
	v_fma_f64 v[28:29], v[44:45], v[0:1], v[30:31]
	v_fma_f64 v[30:31], v[44:45], v[2:3], -v[40:41]
	ds_read_b128 v[0:3], v173 offset:18928
	s_waitcnt lgkmcnt(1)
	v_mul_f64 v[40:41], v[10:11], v[26:27]
	v_mul_f64 v[10:11], v[10:11], v[24:25]
	v_mov_b32_e32 v46, s1
	v_add_co_u32_e32 v42, vcc, s0, v42
	v_addc_co_u32_e32 v43, vcc, v43, v46, vcc
	global_store_dwordx4 v[42:43], v[4:7], off
	v_fma_f64 v[24:25], v[8:9], v[24:25], v[40:41]
	v_mul_f64 v[4:5], v[28:29], s[2:3]
	v_mul_f64 v[6:7], v[30:31], s[2:3]
	v_fma_f64 v[8:9], v[8:9], v[26:27], -v[10:11]
	s_waitcnt lgkmcnt(0)
	v_mul_f64 v[26:27], v[14:15], v[2:3]
	v_mul_f64 v[14:15], v[14:15], v[0:1]
	v_mov_b32_e32 v29, s1
	v_add_co_u32_e32 v28, vcc, s0, v42
	v_addc_co_u32_e32 v29, vcc, v43, v29, vcc
	global_store_dwordx4 v[28:29], v[4:7], off
	v_mov_b32_e32 v30, s1
	v_mul_f64 v[6:7], v[8:9], s[2:3]
	ds_read_b128 v[8:11], v173 offset:21632
	v_mul_f64 v[4:5], v[24:25], s[2:3]
	v_fma_f64 v[24:25], v[12:13], v[0:1], v[26:27]
	v_fma_f64 v[12:13], v[12:13], v[2:3], -v[14:15]
	ds_read_b128 v[0:3], v173 offset:24336
	s_waitcnt lgkmcnt(1)
	v_mul_f64 v[14:15], v[50:51], v[10:11]
	v_mul_f64 v[26:27], v[50:51], v[8:9]
	v_add_co_u32_e32 v28, vcc, s0, v28
	v_addc_co_u32_e32 v29, vcc, v29, v30, vcc
	global_store_dwordx4 v[28:29], v[4:7], off
	v_fma_f64 v[8:9], v[48:49], v[8:9], v[14:15]
	v_mul_f64 v[4:5], v[24:25], s[2:3]
	v_mul_f64 v[6:7], v[12:13], s[2:3]
	v_fma_f64 v[10:11], v[48:49], v[10:11], -v[26:27]
	s_waitcnt lgkmcnt(0)
	v_mul_f64 v[12:13], v[18:19], v[2:3]
	v_mul_f64 v[14:15], v[18:19], v[0:1]
	v_mov_b32_e32 v24, s1
	v_add_co_u32_e32 v18, vcc, s0, v28
	v_addc_co_u32_e32 v19, vcc, v29, v24, vcc
	global_store_dwordx4 v[18:19], v[4:7], off
	v_fma_f64 v[12:13], v[16:17], v[0:1], v[12:13]
	v_mul_f64 v[4:5], v[8:9], s[2:3]
	v_mul_f64 v[6:7], v[10:11], s[2:3]
	ds_read_b128 v[8:11], v173 offset:27040
	v_fma_f64 v[14:15], v[16:17], v[2:3], -v[14:15]
	ds_read_b128 v[0:3], v173 offset:29744
	v_add_co_u32_e32 v18, vcc, s0, v18
	s_waitcnt lgkmcnt(1)
	v_mul_f64 v[16:17], v[22:23], v[10:11]
	v_mul_f64 v[22:23], v[22:23], v[8:9]
	v_addc_co_u32_e32 v19, vcc, v19, v24, vcc
	global_store_dwordx4 v[18:19], v[4:7], off
	s_nop 0
	v_mul_f64 v[4:5], v[12:13], s[2:3]
	v_mul_f64 v[6:7], v[14:15], s[2:3]
	v_fma_f64 v[12:13], v[20:21], v[8:9], v[16:17]
	v_fma_f64 v[14:15], v[20:21], v[10:11], -v[22:23]
	ds_read_b128 v[8:11], v173 offset:32448
	v_add_co_u32_e32 v16, vcc, s0, v18
	v_addc_co_u32_e32 v17, vcc, v19, v24, vcc
	s_waitcnt lgkmcnt(1)
	v_mul_f64 v[18:19], v[34:35], v[2:3]
	v_mul_f64 v[20:21], v[34:35], v[0:1]
	s_waitcnt lgkmcnt(0)
	v_mul_f64 v[22:23], v[38:39], v[10:11]
	v_mul_f64 v[24:25], v[38:39], v[8:9]
	global_store_dwordx4 v[16:17], v[4:7], off
	v_fma_f64 v[0:1], v[32:33], v[0:1], v[18:19]
	v_fma_f64 v[2:3], v[32:33], v[2:3], -v[20:21]
	v_mul_f64 v[4:5], v[12:13], s[2:3]
	v_mul_f64 v[6:7], v[14:15], s[2:3]
	v_fma_f64 v[8:9], v[36:37], v[8:9], v[22:23]
	v_fma_f64 v[10:11], v[36:37], v[10:11], -v[24:25]
	v_mov_b32_e32 v13, s1
	v_add_co_u32_e32 v12, vcc, s0, v16
	v_mul_f64 v[0:1], v[0:1], s[2:3]
	v_mul_f64 v[2:3], v[2:3], s[2:3]
	v_addc_co_u32_e32 v13, vcc, v17, v13, vcc
	global_store_dwordx4 v[12:13], v[4:7], off
	v_mov_b32_e32 v14, s1
	v_mul_f64 v[4:5], v[8:9], s[2:3]
	v_mul_f64 v[6:7], v[10:11], s[2:3]
	v_add_co_u32_e32 v8, vcc, s0, v12
	v_addc_co_u32_e32 v9, vcc, v13, v14, vcc
	global_store_dwordx4 v[8:9], v[0:3], off
	s_nop 0
	v_mov_b32_e32 v1, s1
	v_add_co_u32_e32 v0, vcc, s0, v8
	v_addc_co_u32_e32 v1, vcc, v9, v1, vcc
	global_store_dwordx4 v[0:1], v[4:7], off
.LBB0_2:
	s_endpgm
	.section	.rodata,"a",@progbits
	.p2align	6, 0x0
	.amdhsa_kernel bluestein_single_back_len2197_dim1_dp_op_CI_CI
		.amdhsa_group_segment_fixed_size 35152
		.amdhsa_private_segment_fixed_size 0
		.amdhsa_kernarg_size 104
		.amdhsa_user_sgpr_count 6
		.amdhsa_user_sgpr_private_segment_buffer 1
		.amdhsa_user_sgpr_dispatch_ptr 0
		.amdhsa_user_sgpr_queue_ptr 0
		.amdhsa_user_sgpr_kernarg_segment_ptr 1
		.amdhsa_user_sgpr_dispatch_id 0
		.amdhsa_user_sgpr_flat_scratch_init 0
		.amdhsa_user_sgpr_private_segment_size 0
		.amdhsa_uses_dynamic_stack 0
		.amdhsa_system_sgpr_private_segment_wavefront_offset 0
		.amdhsa_system_sgpr_workgroup_id_x 1
		.amdhsa_system_sgpr_workgroup_id_y 0
		.amdhsa_system_sgpr_workgroup_id_z 0
		.amdhsa_system_sgpr_workgroup_info 0
		.amdhsa_system_vgpr_workitem_id 0
		.amdhsa_next_free_vgpr 253
		.amdhsa_next_free_sgpr 46
		.amdhsa_reserve_vcc 1
		.amdhsa_reserve_flat_scratch 0
		.amdhsa_float_round_mode_32 0
		.amdhsa_float_round_mode_16_64 0
		.amdhsa_float_denorm_mode_32 3
		.amdhsa_float_denorm_mode_16_64 3
		.amdhsa_dx10_clamp 1
		.amdhsa_ieee_mode 1
		.amdhsa_fp16_overflow 0
		.amdhsa_exception_fp_ieee_invalid_op 0
		.amdhsa_exception_fp_denorm_src 0
		.amdhsa_exception_fp_ieee_div_zero 0
		.amdhsa_exception_fp_ieee_overflow 0
		.amdhsa_exception_fp_ieee_underflow 0
		.amdhsa_exception_fp_ieee_inexact 0
		.amdhsa_exception_int_div_zero 0
	.end_amdhsa_kernel
	.text
.Lfunc_end0:
	.size	bluestein_single_back_len2197_dim1_dp_op_CI_CI, .Lfunc_end0-bluestein_single_back_len2197_dim1_dp_op_CI_CI
                                        ; -- End function
	.section	.AMDGPU.csdata,"",@progbits
; Kernel info:
; codeLenInByte = 26600
; NumSgprs: 50
; NumVgprs: 253
; ScratchSize: 0
; MemoryBound: 0
; FloatMode: 240
; IeeeMode: 1
; LDSByteSize: 35152 bytes/workgroup (compile time only)
; SGPRBlocks: 6
; VGPRBlocks: 63
; NumSGPRsForWavesPerEU: 50
; NumVGPRsForWavesPerEU: 253
; Occupancy: 1
; WaveLimiterHint : 1
; COMPUTE_PGM_RSRC2:SCRATCH_EN: 0
; COMPUTE_PGM_RSRC2:USER_SGPR: 6
; COMPUTE_PGM_RSRC2:TRAP_HANDLER: 0
; COMPUTE_PGM_RSRC2:TGID_X_EN: 1
; COMPUTE_PGM_RSRC2:TGID_Y_EN: 0
; COMPUTE_PGM_RSRC2:TGID_Z_EN: 0
; COMPUTE_PGM_RSRC2:TIDIG_COMP_CNT: 0
	.type	__hip_cuid_66f3145d6e7ecb05,@object ; @__hip_cuid_66f3145d6e7ecb05
	.section	.bss,"aw",@nobits
	.globl	__hip_cuid_66f3145d6e7ecb05
__hip_cuid_66f3145d6e7ecb05:
	.byte	0                               ; 0x0
	.size	__hip_cuid_66f3145d6e7ecb05, 1

	.ident	"AMD clang version 19.0.0git (https://github.com/RadeonOpenCompute/llvm-project roc-6.4.0 25133 c7fe45cf4b819c5991fe208aaa96edf142730f1d)"
	.section	".note.GNU-stack","",@progbits
	.addrsig
	.addrsig_sym __hip_cuid_66f3145d6e7ecb05
	.amdgpu_metadata
---
amdhsa.kernels:
  - .args:
      - .actual_access:  read_only
        .address_space:  global
        .offset:         0
        .size:           8
        .value_kind:     global_buffer
      - .actual_access:  read_only
        .address_space:  global
        .offset:         8
        .size:           8
        .value_kind:     global_buffer
      - .actual_access:  read_only
        .address_space:  global
        .offset:         16
        .size:           8
        .value_kind:     global_buffer
      - .actual_access:  read_only
        .address_space:  global
        .offset:         24
        .size:           8
        .value_kind:     global_buffer
      - .actual_access:  read_only
        .address_space:  global
        .offset:         32
        .size:           8
        .value_kind:     global_buffer
      - .offset:         40
        .size:           8
        .value_kind:     by_value
      - .address_space:  global
        .offset:         48
        .size:           8
        .value_kind:     global_buffer
      - .address_space:  global
        .offset:         56
        .size:           8
        .value_kind:     global_buffer
      - .address_space:  global
        .offset:         64
        .size:           8
        .value_kind:     global_buffer
      - .address_space:  global
        .offset:         72
        .size:           8
        .value_kind:     global_buffer
      - .offset:         80
        .size:           4
        .value_kind:     by_value
      - .address_space:  global
        .offset:         88
        .size:           8
        .value_kind:     global_buffer
      - .address_space:  global
        .offset:         96
        .size:           8
        .value_kind:     global_buffer
    .group_segment_fixed_size: 35152
    .kernarg_segment_align: 8
    .kernarg_segment_size: 104
    .language:       OpenCL C
    .language_version:
      - 2
      - 0
    .max_flat_workgroup_size: 169
    .name:           bluestein_single_back_len2197_dim1_dp_op_CI_CI
    .private_segment_fixed_size: 0
    .sgpr_count:     50
    .sgpr_spill_count: 0
    .symbol:         bluestein_single_back_len2197_dim1_dp_op_CI_CI.kd
    .uniform_work_group_size: 1
    .uses_dynamic_stack: false
    .vgpr_count:     253
    .vgpr_spill_count: 0
    .wavefront_size: 64
amdhsa.target:   amdgcn-amd-amdhsa--gfx906
amdhsa.version:
  - 1
  - 2
...

	.end_amdgpu_metadata
